;; amdgpu-corpus repo=ROCm/rocFFT kind=compiled arch=gfx1201 opt=O3
	.text
	.amdgcn_target "amdgcn-amd-amdhsa--gfx1201"
	.amdhsa_code_object_version 6
	.protected	fft_rtc_back_len2700_factors_3_10_10_3_3_wgs_90_tpt_90_halfLds_dp_op_CI_CI_unitstride_sbrr_dirReg ; -- Begin function fft_rtc_back_len2700_factors_3_10_10_3_3_wgs_90_tpt_90_halfLds_dp_op_CI_CI_unitstride_sbrr_dirReg
	.globl	fft_rtc_back_len2700_factors_3_10_10_3_3_wgs_90_tpt_90_halfLds_dp_op_CI_CI_unitstride_sbrr_dirReg
	.p2align	8
	.type	fft_rtc_back_len2700_factors_3_10_10_3_3_wgs_90_tpt_90_halfLds_dp_op_CI_CI_unitstride_sbrr_dirReg,@function
fft_rtc_back_len2700_factors_3_10_10_3_3_wgs_90_tpt_90_halfLds_dp_op_CI_CI_unitstride_sbrr_dirReg: ; @fft_rtc_back_len2700_factors_3_10_10_3_3_wgs_90_tpt_90_halfLds_dp_op_CI_CI_unitstride_sbrr_dirReg
; %bb.0:
	s_clause 0x2
	s_load_b128 s[8:11], s[0:1], 0x0
	s_load_b128 s[4:7], s[0:1], 0x58
	;; [unrolled: 1-line block ×3, first 2 shown]
	v_mul_u32_u24_e32 v1, 0x2d9, v0
	v_mov_b32_e32 v3, 0
	s_delay_alu instid0(VALU_DEP_2) | instskip(NEXT) | instid1(VALU_DEP_1)
	v_lshrrev_b32_e32 v1, 16, v1
	v_add_nc_u32_e32 v5, ttmp9, v1
	v_mov_b32_e32 v1, 0
	v_mov_b32_e32 v2, 0
	;; [unrolled: 1-line block ×3, first 2 shown]
	s_wait_kmcnt 0x0
	v_cmp_lt_u64_e64 s2, s[10:11], 2
	s_delay_alu instid0(VALU_DEP_1)
	s_and_b32 vcc_lo, exec_lo, s2
	s_cbranch_vccnz .LBB0_8
; %bb.1:
	s_load_b64 s[2:3], s[0:1], 0x10
	v_mov_b32_e32 v1, 0
	v_mov_b32_e32 v2, 0
	s_add_nc_u64 s[16:17], s[14:15], 8
	s_add_nc_u64 s[18:19], s[12:13], 8
	s_mov_b64 s[20:21], 1
	s_delay_alu instid0(VALU_DEP_1)
	v_dual_mov_b32 v201, v2 :: v_dual_mov_b32 v200, v1
	s_wait_kmcnt 0x0
	s_add_nc_u64 s[22:23], s[2:3], 8
	s_mov_b32 s3, 0
.LBB0_2:                                ; =>This Inner Loop Header: Depth=1
	s_load_b64 s[24:25], s[22:23], 0x0
                                        ; implicit-def: $vgpr174_vgpr175
	s_mov_b32 s2, exec_lo
	s_wait_kmcnt 0x0
	v_or_b32_e32 v4, s25, v6
	s_delay_alu instid0(VALU_DEP_1)
	v_cmpx_ne_u64_e32 0, v[3:4]
	s_wait_alu 0xfffe
	s_xor_b32 s26, exec_lo, s2
	s_cbranch_execz .LBB0_4
; %bb.3:                                ;   in Loop: Header=BB0_2 Depth=1
	s_cvt_f32_u32 s2, s24
	s_cvt_f32_u32 s27, s25
	s_sub_nc_u64 s[30:31], 0, s[24:25]
	s_wait_alu 0xfffe
	s_delay_alu instid0(SALU_CYCLE_1) | instskip(SKIP_1) | instid1(SALU_CYCLE_2)
	s_fmamk_f32 s2, s27, 0x4f800000, s2
	s_wait_alu 0xfffe
	v_s_rcp_f32 s2, s2
	s_delay_alu instid0(TRANS32_DEP_1) | instskip(SKIP_1) | instid1(SALU_CYCLE_2)
	s_mul_f32 s2, s2, 0x5f7ffffc
	s_wait_alu 0xfffe
	s_mul_f32 s27, s2, 0x2f800000
	s_wait_alu 0xfffe
	s_delay_alu instid0(SALU_CYCLE_2) | instskip(SKIP_1) | instid1(SALU_CYCLE_2)
	s_trunc_f32 s27, s27
	s_wait_alu 0xfffe
	s_fmamk_f32 s2, s27, 0xcf800000, s2
	s_cvt_u32_f32 s29, s27
	s_wait_alu 0xfffe
	s_delay_alu instid0(SALU_CYCLE_1) | instskip(SKIP_1) | instid1(SALU_CYCLE_2)
	s_cvt_u32_f32 s28, s2
	s_wait_alu 0xfffe
	s_mul_u64 s[34:35], s[30:31], s[28:29]
	s_wait_alu 0xfffe
	s_mul_hi_u32 s37, s28, s35
	s_mul_i32 s36, s28, s35
	s_mul_hi_u32 s2, s28, s34
	s_mul_i32 s33, s29, s34
	s_wait_alu 0xfffe
	s_add_nc_u64 s[36:37], s[2:3], s[36:37]
	s_mul_hi_u32 s27, s29, s34
	s_mul_hi_u32 s38, s29, s35
	s_add_co_u32 s2, s36, s33
	s_wait_alu 0xfffe
	s_add_co_ci_u32 s2, s37, s27
	s_mul_i32 s34, s29, s35
	s_add_co_ci_u32 s35, s38, 0
	s_wait_alu 0xfffe
	s_add_nc_u64 s[34:35], s[2:3], s[34:35]
	s_wait_alu 0xfffe
	v_add_co_u32 v4, s2, s28, s34
	s_delay_alu instid0(VALU_DEP_1) | instskip(SKIP_1) | instid1(VALU_DEP_1)
	s_cmp_lg_u32 s2, 0
	s_add_co_ci_u32 s29, s29, s35
	v_readfirstlane_b32 s28, v4
	s_wait_alu 0xfffe
	s_delay_alu instid0(VALU_DEP_1)
	s_mul_u64 s[30:31], s[30:31], s[28:29]
	s_wait_alu 0xfffe
	s_mul_hi_u32 s35, s28, s31
	s_mul_i32 s34, s28, s31
	s_mul_hi_u32 s2, s28, s30
	s_mul_i32 s33, s29, s30
	s_wait_alu 0xfffe
	s_add_nc_u64 s[34:35], s[2:3], s[34:35]
	s_mul_hi_u32 s27, s29, s30
	s_mul_hi_u32 s28, s29, s31
	s_wait_alu 0xfffe
	s_add_co_u32 s2, s34, s33
	s_add_co_ci_u32 s2, s35, s27
	s_mul_i32 s30, s29, s31
	s_add_co_ci_u32 s31, s28, 0
	s_wait_alu 0xfffe
	s_add_nc_u64 s[30:31], s[2:3], s[30:31]
	s_wait_alu 0xfffe
	v_add_co_u32 v4, s2, v4, s30
	s_delay_alu instid0(VALU_DEP_1) | instskip(SKIP_1) | instid1(VALU_DEP_1)
	s_cmp_lg_u32 s2, 0
	s_add_co_ci_u32 s2, s29, s31
	v_mul_hi_u32 v13, v5, v4
	s_wait_alu 0xfffe
	v_mad_co_u64_u32 v[7:8], null, v5, s2, 0
	v_mad_co_u64_u32 v[9:10], null, v6, v4, 0
	;; [unrolled: 1-line block ×3, first 2 shown]
	s_delay_alu instid0(VALU_DEP_3) | instskip(SKIP_1) | instid1(VALU_DEP_4)
	v_add_co_u32 v4, vcc_lo, v13, v7
	s_wait_alu 0xfffd
	v_add_co_ci_u32_e32 v7, vcc_lo, 0, v8, vcc_lo
	s_delay_alu instid0(VALU_DEP_2) | instskip(SKIP_1) | instid1(VALU_DEP_2)
	v_add_co_u32 v4, vcc_lo, v4, v9
	s_wait_alu 0xfffd
	v_add_co_ci_u32_e32 v4, vcc_lo, v7, v10, vcc_lo
	s_wait_alu 0xfffd
	v_add_co_ci_u32_e32 v7, vcc_lo, 0, v12, vcc_lo
	s_delay_alu instid0(VALU_DEP_2) | instskip(SKIP_1) | instid1(VALU_DEP_2)
	v_add_co_u32 v4, vcc_lo, v4, v11
	s_wait_alu 0xfffd
	v_add_co_ci_u32_e32 v9, vcc_lo, 0, v7, vcc_lo
	s_delay_alu instid0(VALU_DEP_2) | instskip(SKIP_1) | instid1(VALU_DEP_3)
	v_mul_lo_u32 v10, s25, v4
	v_mad_co_u64_u32 v[7:8], null, s24, v4, 0
	v_mul_lo_u32 v11, s24, v9
	s_delay_alu instid0(VALU_DEP_2) | instskip(NEXT) | instid1(VALU_DEP_2)
	v_sub_co_u32 v7, vcc_lo, v5, v7
	v_add3_u32 v8, v8, v11, v10
	s_delay_alu instid0(VALU_DEP_1) | instskip(SKIP_1) | instid1(VALU_DEP_1)
	v_sub_nc_u32_e32 v10, v6, v8
	s_wait_alu 0xfffd
	v_subrev_co_ci_u32_e64 v10, s2, s25, v10, vcc_lo
	v_add_co_u32 v11, s2, v4, 2
	s_wait_alu 0xf1ff
	v_add_co_ci_u32_e64 v12, s2, 0, v9, s2
	v_sub_co_u32 v13, s2, v7, s24
	v_sub_co_ci_u32_e32 v8, vcc_lo, v6, v8, vcc_lo
	s_wait_alu 0xf1ff
	v_subrev_co_ci_u32_e64 v10, s2, 0, v10, s2
	s_delay_alu instid0(VALU_DEP_3) | instskip(NEXT) | instid1(VALU_DEP_3)
	v_cmp_le_u32_e32 vcc_lo, s24, v13
	v_cmp_eq_u32_e64 s2, s25, v8
	s_wait_alu 0xfffd
	v_cndmask_b32_e64 v13, 0, -1, vcc_lo
	v_cmp_le_u32_e32 vcc_lo, s25, v10
	s_wait_alu 0xfffd
	v_cndmask_b32_e64 v14, 0, -1, vcc_lo
	v_cmp_le_u32_e32 vcc_lo, s24, v7
	;; [unrolled: 3-line block ×3, first 2 shown]
	s_wait_alu 0xfffd
	v_cndmask_b32_e64 v15, 0, -1, vcc_lo
	v_cmp_eq_u32_e32 vcc_lo, s25, v10
	s_wait_alu 0xf1ff
	s_delay_alu instid0(VALU_DEP_2)
	v_cndmask_b32_e64 v7, v15, v7, s2
	s_wait_alu 0xfffd
	v_cndmask_b32_e32 v10, v14, v13, vcc_lo
	v_add_co_u32 v13, vcc_lo, v4, 1
	s_wait_alu 0xfffd
	v_add_co_ci_u32_e32 v14, vcc_lo, 0, v9, vcc_lo
	s_delay_alu instid0(VALU_DEP_3) | instskip(SKIP_1) | instid1(VALU_DEP_2)
	v_cmp_ne_u32_e32 vcc_lo, 0, v10
	s_wait_alu 0xfffd
	v_cndmask_b32_e32 v8, v14, v12, vcc_lo
	v_cndmask_b32_e32 v10, v13, v11, vcc_lo
	v_cmp_ne_u32_e32 vcc_lo, 0, v7
	s_wait_alu 0xfffd
	s_delay_alu instid0(VALU_DEP_2)
	v_dual_cndmask_b32 v175, v9, v8 :: v_dual_cndmask_b32 v174, v4, v10
.LBB0_4:                                ;   in Loop: Header=BB0_2 Depth=1
	s_wait_alu 0xfffe
	s_and_not1_saveexec_b32 s2, s26
	s_cbranch_execz .LBB0_6
; %bb.5:                                ;   in Loop: Header=BB0_2 Depth=1
	v_cvt_f32_u32_e32 v4, s24
	s_sub_co_i32 s26, 0, s24
	v_mov_b32_e32 v175, v3
	s_delay_alu instid0(VALU_DEP_2) | instskip(NEXT) | instid1(TRANS32_DEP_1)
	v_rcp_iflag_f32_e32 v4, v4
	v_mul_f32_e32 v4, 0x4f7ffffe, v4
	s_delay_alu instid0(VALU_DEP_1) | instskip(SKIP_1) | instid1(VALU_DEP_1)
	v_cvt_u32_f32_e32 v4, v4
	s_wait_alu 0xfffe
	v_mul_lo_u32 v7, s26, v4
	s_delay_alu instid0(VALU_DEP_1) | instskip(NEXT) | instid1(VALU_DEP_1)
	v_mul_hi_u32 v7, v4, v7
	v_add_nc_u32_e32 v4, v4, v7
	s_delay_alu instid0(VALU_DEP_1) | instskip(NEXT) | instid1(VALU_DEP_1)
	v_mul_hi_u32 v4, v5, v4
	v_mul_lo_u32 v7, v4, s24
	v_add_nc_u32_e32 v8, 1, v4
	s_delay_alu instid0(VALU_DEP_2) | instskip(NEXT) | instid1(VALU_DEP_1)
	v_sub_nc_u32_e32 v7, v5, v7
	v_subrev_nc_u32_e32 v9, s24, v7
	v_cmp_le_u32_e32 vcc_lo, s24, v7
	s_wait_alu 0xfffd
	s_delay_alu instid0(VALU_DEP_2) | instskip(NEXT) | instid1(VALU_DEP_1)
	v_dual_cndmask_b32 v7, v7, v9 :: v_dual_cndmask_b32 v4, v4, v8
	v_cmp_le_u32_e32 vcc_lo, s24, v7
	s_delay_alu instid0(VALU_DEP_2) | instskip(SKIP_1) | instid1(VALU_DEP_1)
	v_add_nc_u32_e32 v8, 1, v4
	s_wait_alu 0xfffd
	v_cndmask_b32_e32 v174, v4, v8, vcc_lo
.LBB0_6:                                ;   in Loop: Header=BB0_2 Depth=1
	s_wait_alu 0xfffe
	s_or_b32 exec_lo, exec_lo, s2
	v_mul_lo_u32 v4, v175, s24
	s_delay_alu instid0(VALU_DEP_2)
	v_mul_lo_u32 v9, v174, s25
	s_load_b64 s[26:27], s[18:19], 0x0
	v_mad_co_u64_u32 v[7:8], null, v174, s24, 0
	s_load_b64 s[24:25], s[16:17], 0x0
	s_add_nc_u64 s[20:21], s[20:21], 1
	s_add_nc_u64 s[16:17], s[16:17], 8
	s_wait_alu 0xfffe
	v_cmp_ge_u64_e64 s2, s[20:21], s[10:11]
	s_add_nc_u64 s[18:19], s[18:19], 8
	s_add_nc_u64 s[22:23], s[22:23], 8
	v_add3_u32 v4, v8, v9, v4
	v_sub_co_u32 v5, vcc_lo, v5, v7
	s_wait_alu 0xfffd
	s_delay_alu instid0(VALU_DEP_2) | instskip(SKIP_2) | instid1(VALU_DEP_1)
	v_sub_co_ci_u32_e32 v4, vcc_lo, v6, v4, vcc_lo
	s_and_b32 vcc_lo, exec_lo, s2
	s_wait_kmcnt 0x0
	v_mul_lo_u32 v6, s26, v4
	v_mul_lo_u32 v7, s27, v5
	v_mad_co_u64_u32 v[1:2], null, s26, v5, v[1:2]
	v_mul_lo_u32 v4, s24, v4
	v_mul_lo_u32 v8, s25, v5
	v_mad_co_u64_u32 v[200:201], null, s24, v5, v[200:201]
	s_delay_alu instid0(VALU_DEP_4) | instskip(NEXT) | instid1(VALU_DEP_2)
	v_add3_u32 v2, v7, v2, v6
	v_add3_u32 v201, v8, v201, v4
	s_wait_alu 0xfffe
	s_cbranch_vccnz .LBB0_9
; %bb.7:                                ;   in Loop: Header=BB0_2 Depth=1
	v_dual_mov_b32 v5, v174 :: v_dual_mov_b32 v6, v175
	s_branch .LBB0_2
.LBB0_8:
	v_dual_mov_b32 v201, v2 :: v_dual_mov_b32 v200, v1
	v_dual_mov_b32 v175, v6 :: v_dual_mov_b32 v174, v5
.LBB0_9:
	s_load_b64 s[0:1], s[0:1], 0x28
	v_mul_hi_u32 v3, 0x2d82d83, v0
	s_lshl_b64 s[2:3], s[10:11], 3
                                        ; implicit-def: $vgpr204
	s_wait_kmcnt 0x0
	v_cmp_gt_u64_e32 vcc_lo, s[0:1], v[174:175]
	v_cmp_le_u64_e64 s0, s[0:1], v[174:175]
	s_delay_alu instid0(VALU_DEP_1)
	s_and_saveexec_b32 s1, s0
	s_wait_alu 0xfffe
	s_xor_b32 s0, exec_lo, s1
; %bb.10:
	v_mul_u32_u24_e32 v1, 0x5a, v3
                                        ; implicit-def: $vgpr3
	s_delay_alu instid0(VALU_DEP_1)
	v_sub_nc_u32_e32 v204, v0, v1
                                        ; implicit-def: $vgpr0
                                        ; implicit-def: $vgpr1_vgpr2
; %bb.11:
	s_wait_alu 0xfffe
	s_or_saveexec_b32 s1, s0
	s_add_nc_u64 s[10:11], s[14:15], s[2:3]
                                        ; implicit-def: $vgpr100_vgpr101
                                        ; implicit-def: $vgpr112_vgpr113
                                        ; implicit-def: $vgpr104_vgpr105
                                        ; implicit-def: $vgpr96_vgpr97
                                        ; implicit-def: $vgpr108_vgpr109
                                        ; implicit-def: $vgpr92_vgpr93
                                        ; implicit-def: $vgpr72_vgpr73
                                        ; implicit-def: $vgpr88_vgpr89
                                        ; implicit-def: $vgpr80_vgpr81
                                        ; implicit-def: $vgpr68_vgpr69
                                        ; implicit-def: $vgpr84_vgpr85
                                        ; implicit-def: $vgpr64_vgpr65
                                        ; implicit-def: $vgpr44_vgpr45
                                        ; implicit-def: $vgpr60_vgpr61
                                        ; implicit-def: $vgpr52_vgpr53
                                        ; implicit-def: $vgpr48_vgpr49
                                        ; implicit-def: $vgpr56_vgpr57
                                        ; implicit-def: $vgpr32_vgpr33
                                        ; implicit-def: $vgpr20_vgpr21
                                        ; implicit-def: $vgpr28_vgpr29
                                        ; implicit-def: $vgpr16_vgpr17
                                        ; implicit-def: $vgpr76_vgpr77
                                        ; implicit-def: $vgpr120_vgpr121
                                        ; implicit-def: $vgpr40_vgpr41
                                        ; implicit-def: $vgpr36_vgpr37
                                        ; implicit-def: $vgpr116_vgpr117
                                        ; implicit-def: $vgpr24_vgpr25
                                        ; implicit-def: $vgpr12_vgpr13
                                        ; implicit-def: $vgpr8_vgpr9
                                        ; implicit-def: $vgpr4_vgpr5
	s_wait_alu 0xfffe
	s_xor_b32 exec_lo, exec_lo, s1
	s_cbranch_execz .LBB0_13
; %bb.12:
	s_add_nc_u64 s[2:3], s[12:13], s[2:3]
	v_lshlrev_b64_e32 v[1:2], 4, v[1:2]
	s_load_b64 s[2:3], s[2:3], 0x0
	s_wait_kmcnt 0x0
	v_mul_lo_u32 v6, s3, v174
	v_mul_lo_u32 v7, s2, v175
	v_mad_co_u64_u32 v[4:5], null, s2, v174, 0
	s_delay_alu instid0(VALU_DEP_1) | instskip(SKIP_1) | instid1(VALU_DEP_2)
	v_add3_u32 v5, v5, v7, v6
	v_mul_u32_u24_e32 v6, 0x5a, v3
	v_lshlrev_b64_e32 v[3:4], 4, v[4:5]
	s_delay_alu instid0(VALU_DEP_2) | instskip(NEXT) | instid1(VALU_DEP_2)
	v_sub_nc_u32_e32 v204, v0, v6
	v_add_co_u32 v0, s0, s4, v3
	s_wait_alu 0xf1ff
	s_delay_alu instid0(VALU_DEP_3) | instskip(NEXT) | instid1(VALU_DEP_3)
	v_add_co_ci_u32_e64 v3, s0, s5, v4, s0
	v_lshlrev_b32_e32 v4, 4, v204
	s_delay_alu instid0(VALU_DEP_3) | instskip(SKIP_1) | instid1(VALU_DEP_3)
	v_add_co_u32 v0, s0, v0, v1
	s_wait_alu 0xf1ff
	v_add_co_ci_u32_e64 v1, s0, v3, v2, s0
	s_delay_alu instid0(VALU_DEP_2) | instskip(SKIP_1) | instid1(VALU_DEP_2)
	v_add_co_u32 v0, s0, v0, v4
	s_wait_alu 0xf1ff
	v_add_co_ci_u32_e64 v1, s0, 0, v1, s0
	s_clause 0x1d
	global_load_b128 v[2:5], v[0:1], off
	global_load_b128 v[22:25], v[0:1], off offset:1440
	global_load_b128 v[6:9], v[0:1], off offset:14400
	;; [unrolled: 1-line block ×29, first 2 shown]
.LBB0_13:
	s_or_b32 exec_lo, exec_lo, s1
	s_wait_loadcnt 0x18
	v_add_f64_e32 v[0:1], v[34:35], v[114:115]
	s_wait_loadcnt 0x13
	v_add_f64_e32 v[122:123], v[74:75], v[118:119]
	;; [unrolled: 2-line block ×4, first 2 shown]
	v_add_f64_e32 v[128:129], v[10:11], v[6:7]
	s_wait_loadcnt 0xc
	v_add_f64_e32 v[130:131], v[42:43], v[58:59]
	s_wait_loadcnt 0x7
	;; [unrolled: 2-line block ×5, first 2 shown]
	v_add_f64_e32 v[138:139], v[98:99], v[110:111]
	v_add_f64_e32 v[140:141], v[114:115], v[22:23]
	v_add_f64_e64 v[142:143], v[116:117], -v[36:37]
	v_add_f64_e32 v[160:161], v[58:59], v[50:51]
	v_add_f64_e32 v[144:145], v[118:119], v[38:39]
	v_add_f64_e64 v[146:147], v[120:121], -v[76:77]
	;; [unrolled: 3-line block ×5, first 2 shown]
	v_add_f64_e32 v[168:169], v[110:111], v[102:103]
	s_mov_b32 s2, 0xe8584caa
	s_mov_b32 s3, 0xbfebb67a
	v_add_f64_e64 v[114:115], v[114:115], -v[34:35]
	v_add_f64_e64 v[118:119], v[118:119], -v[74:75]
	s_mov_b32 s5, 0x3febb67a
	s_wait_alu 0xfffe
	s_mov_b32 s4, s2
	s_load_b64 s[10:11], s[10:11], 0x0
	v_add_f64_e64 v[58:59], v[58:59], -v[42:43]
	v_and_b32_e32 v202, 0xff, v204
	v_lshl_add_u32 v198, v204, 3, 0
	v_add_nc_u32_e32 v218, 0x5a, v204
	v_add_nc_u32_e32 v219, 0xb4, v204
	s_mov_b32 s18, 0x134454ff
	v_fma_f64 v[0:1], v[0:1], -0.5, v[22:23]
	v_fma_f64 v[22:23], v[122:123], -0.5, v[38:39]
	;; [unrolled: 1-line block ×5, first 2 shown]
	v_add_f64_e64 v[122:123], v[60:61], -v[44:45]
	v_fma_f64 v[50:51], v[130:131], -0.5, v[50:51]
	v_add_f64_e64 v[124:125], v[84:85], -v[68:69]
	v_fma_f64 v[62:63], v[132:133], -0.5, v[62:63]
	;; [unrolled: 2-line block ×5, first 2 shown]
	v_add_f64_e32 v[38:39], v[116:117], v[24:25]
	v_add_f64_e32 v[116:117], v[36:37], v[116:117]
	;; [unrolled: 1-line block ×14, first 2 shown]
	v_add_f64_e64 v[46:47], v[54:55], -v[46:47]
	v_add_f64_e64 v[66:67], v[82:83], -v[66:67]
	v_add_f64_e32 v[82:83], v[88:89], v[80:81]
	v_add_f64_e64 v[70:71], v[86:87], -v[70:71]
	v_add_f64_e32 v[86:87], v[108:109], v[92:93]
	v_add_f64_e64 v[98:99], v[110:111], -v[98:99]
	v_add_nc_u32_e32 v199, 0x400, v198
	v_add_nc_u32_e32 v208, 0x1000, v198
	;; [unrolled: 1-line block ×3, first 2 shown]
	v_fma_f64 v[160:161], v[142:143], s[2:3], v[0:1]
	v_fma_f64 v[162:163], v[146:147], s[2:3], v[22:23]
	;; [unrolled: 1-line block ×20, first 2 shown]
	v_add_f64_e32 v[130:131], v[12:13], v[8:9]
	v_add_f64_e32 v[150:151], v[20:21], v[28:29]
	;; [unrolled: 1-line block ×3, first 2 shown]
	v_mad_u32_u24 v62, v204, 24, 0
	v_fma_f64 v[116:117], v[116:117], -0.5, v[24:25]
	v_add_f64_e32 v[24:25], v[72:73], v[88:89]
	v_add_f64_e32 v[56:57], v[56:57], v[32:33]
	v_add_f64_e64 v[88:89], v[106:107], -v[94:95]
	v_add_nc_u32_e32 v172, 0x870, v62
	v_add_nc_u32_e32 v173, 0x10e0, v62
	;; [unrolled: 1-line block ×9, first 2 shown]
	v_fma_f64 v[120:121], v[120:121], -0.5, v[40:41]
	ds_store_2addr_b64 v172, v[34:35], v[160:161] offset1:1
	ds_store_2addr_b64 v173, v[74:75], v[162:163] offset1:1
	;; [unrolled: 1-line block ×5, first 2 shown]
	ds_store_b64 v62, v[2:3] offset:16
	ds_store_b64 v62, v[0:1] offset:2176
	;; [unrolled: 1-line block ×6, first 2 shown]
	ds_store_2addr_b64 v178, v[142:143], v[50:51] offset1:1
	ds_store_b64 v62, v[144:145] offset:12960
	ds_store_2addr_b64 v179, v[122:123], v[124:125] offset1:1
	ds_store_b64 v62, v[148:149] offset:15120
	;; [unrolled: 2-line block ×4, first 2 shown]
	ds_store_2addr_b64 v182, v[128:129], v[102:103] offset1:1
	v_add_f64_e32 v[22:23], v[68:69], v[84:85]
	v_add_f64_e32 v[30:31], v[96:97], v[108:109]
	;; [unrolled: 1-line block ×5, first 2 shown]
	v_add_f64_e64 v[74:75], v[6:7], -v[10:11]
	v_add_f64_e32 v[90:91], v[28:29], v[16:17]
	v_add_f64_e64 v[102:103], v[26:27], -v[18:19]
	v_add_f64_e32 v[60:61], v[60:61], v[52:53]
	v_add_f64_e32 v[84:85], v[84:85], v[64:65]
	;; [unrolled: 1-line block ×5, first 2 shown]
	v_add_nc_u32_e32 v217, 0x1800, v198
	v_add_nc_u32_e32 v215, 0x2800, v198
	;; [unrolled: 1-line block ×6, first 2 shown]
	v_fma_f64 v[78:79], v[130:131], -0.5, v[4:5]
	v_fma_f64 v[122:123], v[150:151], -0.5, v[16:17]
	v_fma_f64 v[124:125], v[154:155], -0.5, v[32:33]
	v_add_nc_u32_e32 v207, 0x2400, v198
	v_fma_f64 v[106:107], v[114:115], s[4:5], v[116:117]
	v_fma_f64 v[80:81], v[24:25], -0.5, v[80:81]
	v_add_f64_e32 v[56:57], v[48:49], v[56:57]
	v_fma_f64 v[114:115], v[114:115], s[2:3], v[116:117]
	v_add_nc_u32_e32 v212, 0x3000, v198
	global_wb scope:SCOPE_SE
	s_wait_dscnt 0x0
	s_wait_kmcnt 0x0
	s_barrier_signal -1
	s_barrier_wait -1
	global_inv scope:SCOPE_SE
	ds_load_2addr_b64 v[0:3], v198 offset1:90
	v_add_nc_u32_e32 v205, 0x3800, v198
	v_add_nc_u32_e32 v209, 0x4000, v198
	;; [unrolled: 1-line block ×3, first 2 shown]
	v_fma_f64 v[116:117], v[118:119], s[2:3], v[120:121]
	ds_load_2addr_b64 v[4:7], v199 offset0:52 offset1:142
	v_fma_f64 v[63:64], v[22:23], -0.5, v[64:65]
	v_fma_f64 v[92:93], v[30:31], -0.5, v[92:93]
	;; [unrolled: 1-line block ×4, first 2 shown]
	v_add_f64_e32 v[108:109], v[12:13], v[50:51]
	ds_load_2addr_b64 v[158:161], v208 offset0:28 offset1:118
	ds_load_2addr_b64 v[28:31], v210 offset0:80 offset1:170
	;; [unrolled: 1-line block ×8, first 2 shown]
	v_add_f64_e32 v[90:91], v[20:21], v[90:91]
	ds_load_2addr_b64 v[32:35], v214 offset0:104 offset1:194
	v_add_f64_e32 v[60:61], v[44:45], v[60:61]
	v_add_f64_e32 v[68:69], v[68:69], v[84:85]
	ds_load_2addr_b64 v[20:23], v217 offset0:132 offset1:222
	ds_load_2addr_b64 v[12:15], v215 offset0:160 offset1:250
	v_and_b32_e32 v203, 0xff, v218
	v_and_b32_e32 v220, 0xffff, v219
	s_mov_b32 s19, 0xbfee6f0e
	s_mov_b32 s1, 0x3fee6f0e
	;; [unrolled: 1-line block ×5, first 2 shown]
	v_fma_f64 v[110:111], v[74:75], s[4:5], v[78:79]
	v_fma_f64 v[74:75], v[74:75], s[2:3], v[78:79]
	;; [unrolled: 1-line block ×7, first 2 shown]
	ds_load_2addr_b64 v[48:51], v213 offset0:60 offset1:150
	ds_load_2addr_b64 v[44:47], v216 offset0:88 offset1:178
	global_wb scope:SCOPE_SE
	s_wait_dscnt 0x0
	s_barrier_signal -1
	s_barrier_wait -1
	global_inv scope:SCOPE_SE
	s_mov_b32 s13, 0x3fe2cf23
	s_mov_b32 s12, s16
	;; [unrolled: 1-line block ×6, first 2 shown]
	ds_store_2addr_b64 v62, v[108:109], v[110:111] offset1:1
	ds_store_b64 v62, v[74:75] offset:16
	v_fma_f64 v[120:121], v[66:67], s[4:5], v[63:64]
	v_fma_f64 v[63:64], v[66:67], s[2:3], v[63:64]
	v_add_f64_e32 v[65:66], v[72:73], v[82:83]
	v_fma_f64 v[72:73], v[70:71], s[4:5], v[80:81]
	v_fma_f64 v[70:71], v[70:71], s[2:3], v[80:81]
	v_add_f64_e32 v[80:81], v[96:97], v[86:87]
	v_fma_f64 v[86:87], v[88:89], s[4:5], v[92:93]
	v_fma_f64 v[88:89], v[88:89], s[2:3], v[92:93]
	;; [unrolled: 1-line block ×4, first 2 shown]
	v_add_f64_e32 v[82:83], v[100:101], v[94:95]
	v_fma_f64 v[92:93], v[98:99], s[4:5], v[104:105]
	v_fma_f64 v[94:95], v[98:99], s[2:3], v[104:105]
	v_mul_lo_u16 v67, 0xab, v202
	ds_store_2addr_b64 v172, v[170:171], v[106:107] offset1:1
	ds_store_2addr_b64 v173, v[76:77], v[78:79] offset1:1
	;; [unrolled: 1-line block ×4, first 2 shown]
	v_mul_lo_u16 v57, 0xab, v203
	ds_store_b64 v62, v[114:115] offset:2176
	ds_store_b64 v62, v[116:117] offset:4336
	;; [unrolled: 1-line block ×5, first 2 shown]
	ds_store_2addr_b64 v178, v[84:85], v[58:59] offset1:1
	ds_store_b64 v62, v[68:69] offset:12960
	ds_store_2addr_b64 v179, v[120:121], v[63:64] offset1:1
	v_lshrrev_b16 v221, 9, v67
	v_lshrrev_b16 v224, 9, v57
	ds_store_b64 v62, v[65:66] offset:15120
	ds_store_2addr_b64 v180, v[72:73], v[70:71] offset1:1
	ds_store_b64 v62, v[80:81] offset:17280
	ds_store_2addr_b64 v181, v[86:87], v[88:89] offset1:1
	;; [unrolled: 2-line block ×3, first 2 shown]
	global_wb scope:SCOPE_SE
	s_wait_dscnt 0x0
	v_mul_lo_u16 v56, v221, 3
	s_barrier_signal -1
	s_barrier_wait -1
	global_inv scope:SCOPE_SE
	v_and_b32_e32 v221, 0xffff, v221
	v_sub_nc_u16 v56, v204, v56
	s_mov_b32 s23, 0xbfd3c6ef
	s_mov_b32 s22, s14
	;; [unrolled: 1-line block ×3, first 2 shown]
	v_mul_u32_u24_e32 v237, 0xf0, v221
	v_and_b32_e32 v222, 0xff, v56
	v_mul_lo_u16 v56, v224, 3
	s_wait_alu 0xfffe
	s_mov_b32 s20, s24
	s_delay_alu instid0(VALU_DEP_2) | instskip(NEXT) | instid1(VALU_DEP_2)
	v_mul_u32_u24_e32 v57, 9, v222
	v_sub_nc_u16 v56, v218, v56
	s_delay_alu instid0(VALU_DEP_2) | instskip(NEXT) | instid1(VALU_DEP_2)
	v_lshlrev_b32_e32 v144, 4, v57
	v_and_b32_e32 v223, 0xff, v56
	s_clause 0x1
	global_load_b128 v[162:165], v144, s[8:9] offset:16
	global_load_b128 v[148:151], v144, s[8:9] offset:48
	v_mul_u32_u24_e32 v56, 9, v223
	s_delay_alu instid0(VALU_DEP_1)
	v_lshlrev_b32_e32 v108, 4, v56
	v_mul_u32_u24_e32 v56, 0xaaab, v220
	s_clause 0x3
	global_load_b128 v[182:185], v108, s[8:9] offset:16
	global_load_b128 v[152:155], v108, s[8:9] offset:48
	;; [unrolled: 1-line block ×4, first 2 shown]
	v_lshrrev_b32_e32 v226, 17, v56
	s_clause 0x1
	global_load_b128 v[68:71], v144, s[8:9] offset:112
	global_load_b128 v[60:63], v108, s[8:9] offset:112
	v_mul_lo_u16 v56, v226, 3
	v_mul_u32_u24_e32 v226, 0xf0, v226
	s_delay_alu instid0(VALU_DEP_2) | instskip(NEXT) | instid1(VALU_DEP_1)
	v_sub_nc_u16 v56, v219, v56
	v_and_b32_e32 v225, 0xffff, v56
	s_delay_alu instid0(VALU_DEP_1) | instskip(NEXT) | instid1(VALU_DEP_1)
	v_mul_u32_u24_e32 v56, 9, v225
	v_lshlrev_b32_e32 v140, 4, v56
	s_clause 0x12
	global_load_b128 v[56:59], v108, s[8:9]
	global_load_b128 v[76:79], v140, s[8:9]
	global_load_b128 v[64:67], v144, s[8:9] offset:32
	global_load_b128 v[88:91], v140, s[8:9] offset:16
	;; [unrolled: 1-line block ×16, first 2 shown]
	global_load_b128 v[144:147], v144, s[8:9]
	ds_load_2addr_b64 v[227:230], v208 offset0:28 offset1:118
	ds_load_2addr_b64 v[170:173], v206 offset0:56 offset1:146
	;; [unrolled: 1-line block ×3, first 2 shown]
	s_wait_loadcnt_dscnt 0x1a02
	v_mul_f64_e32 v[178:179], v[227:228], v[164:165]
	v_mul_f64_e32 v[164:165], v[158:159], v[164:165]
	s_wait_loadcnt_dscnt 0x1901
	v_mul_f64_e32 v[194:195], v[170:171], v[150:151]
	v_mul_f64_e32 v[196:197], v[52:53], v[150:151]
	s_wait_loadcnt 0x18
	v_mul_f64_e32 v[180:181], v[229:230], v[184:185]
	v_mul_f64_e32 v[231:232], v[160:161], v[184:185]
	s_wait_loadcnt 0x17
	v_mul_f64_e32 v[192:193], v[172:173], v[154:155]
	v_mul_f64_e32 v[190:191], v[54:55], v[154:155]
	ds_load_2addr_b64 v[154:157], v209 offset0:112 offset1:202
	s_wait_loadcnt_dscnt 0x1601
	v_mul_f64_e32 v[184:185], v[166:167], v[82:83]
	v_mul_f64_e32 v[186:187], v[40:41], v[82:83]
	s_wait_loadcnt 0x15
	v_mul_f64_e32 v[176:177], v[168:169], v[74:75]
	v_mul_f64_e32 v[188:189], v[42:43], v[74:75]
	s_wait_loadcnt 0x10
	v_mul_f64_e32 v[235:236], v[30:31], v[66:67]
	v_fma_f64 v[82:83], v[158:159], v[162:163], v[178:179]
	v_fma_f64 v[150:151], v[227:228], v[162:163], -v[164:165]
	ds_load_2addr_b64 v[162:165], v214 offset0:104 offset1:194
	s_wait_dscnt 0x1
	v_mul_f64_e32 v[178:179], v[154:155], v[70:71]
	v_fma_f64 v[194:195], v[52:53], v[148:149], v[194:195]
	v_fma_f64 v[148:149], v[170:171], v[148:149], -v[196:197]
	v_mul_f64_e32 v[227:228], v[32:33], v[58:59]
	v_fma_f64 v[74:75], v[160:161], v[182:183], v[180:181]
	v_mul_f64_e32 v[180:181], v[36:37], v[70:71]
	v_fma_f64 v[70:71], v[229:230], v[182:183], -v[231:232]
	v_mul_f64_e32 v[182:183], v[156:157], v[62:63]
	v_mul_f64_e32 v[62:63], v[38:39], v[62:63]
	ds_load_2addr_b64 v[158:161], v210 offset0:80 offset1:170
	v_fma_f64 v[192:193], v[54:55], v[152:153], v[192:193]
	v_fma_f64 v[190:191], v[172:173], v[152:153], -v[190:191]
	ds_load_2addr_b64 v[52:55], v207 offset0:108 offset1:198
	v_mul_f64_e32 v[231:232], v[34:35], v[78:79]
	s_wait_dscnt 0x2
	v_mul_f64_e32 v[196:197], v[162:163], v[58:59]
	v_mul_f64_e32 v[229:230], v[164:165], v[78:79]
	ds_load_2addr_b64 v[170:173], v205 offset0:8 offset1:98
	v_fma_f64 v[184:185], v[40:41], v[80:81], v[184:185]
	v_fma_f64 v[186:187], v[166:167], v[80:81], -v[186:187]
	ds_load_2addr_b64 v[78:81], v211 offset0:36 offset1:126
	v_fma_f64 v[42:43], v[42:43], v[72:73], v[176:177]
	v_fma_f64 v[72:73], v[168:169], v[72:73], -v[188:189]
	v_and_b32_e32 v58, 0xffff, v224
	v_lshlrev_b32_e32 v167, 3, v222
	v_lshlrev_b32_e32 v168, 3, v223
	;; [unrolled: 1-line block ×3, first 2 shown]
	s_delay_alu instid0(VALU_DEP_4)
	v_mul_u32_u24_e32 v166, 0xf0, v58
	s_wait_dscnt 0x3
	v_mul_f64_e32 v[233:234], v[160:161], v[66:67]
	s_wait_loadcnt 0xf
	v_mul_f64_e32 v[176:177], v[158:159], v[90:91]
	v_mul_f64_e32 v[90:91], v[28:29], v[90:91]
	s_wait_loadcnt_dscnt 0xe02
	v_mul_f64_e32 v[188:189], v[54:55], v[94:95]
	v_mul_f64_e32 v[94:95], v[26:27], v[94:95]
	v_fma_f64 v[178:179], v[36:37], v[68:69], v[178:179]
	s_wait_loadcnt_dscnt 0x900
	v_mul_f64_e32 v[223:224], v[78:79], v[106:107]
	v_mul_f64_e32 v[106:107], v[8:9], v[106:107]
	v_fma_f64 v[40:41], v[154:155], v[68:69], -v[180:181]
	ds_load_2addr_b64 v[66:69], v217 offset0:132 offset1:222
	v_fma_f64 v[38:39], v[38:39], v[60:61], v[182:183]
	v_mul_f64_e32 v[182:183], v[172:173], v[98:99]
	v_fma_f64 v[36:37], v[156:157], v[60:61], -v[62:63]
	v_mul_f64_e32 v[62:63], v[18:19], v[98:99]
	v_mul_f64_e32 v[98:99], v[170:171], v[102:103]
	ds_load_2addr_b64 v[58:61], v215 offset0:160 offset1:250
	ds_load_2addr_b64 v[152:155], v213 offset0:60 offset1:150
	v_fma_f64 v[156:157], v[32:33], v[56:57], v[196:197]
	v_mul_f64_e32 v[196:197], v[80:81], v[134:135]
	v_mul_f64_e32 v[134:135], v[10:11], v[134:135]
	v_fma_f64 v[56:57], v[162:163], v[56:57], -v[227:228]
	v_fma_f64 v[221:222], v[34:35], v[76:77], v[229:230]
	v_fma_f64 v[76:77], v[164:165], v[76:77], -v[231:232]
	ds_load_2addr_b64 v[162:165], v216 offset0:88 offset1:178
	v_mul_f64_e32 v[180:181], v[52:53], v[86:87]
	v_mul_f64_e32 v[102:103], v[16:17], v[102:103]
	v_add3_u32 v34, 0, v237, v167
	v_add3_u32 v33, 0, v166, v168
	;; [unrolled: 1-line block ×3, first 2 shown]
	ds_load_2addr_b64 v[166:169], v199 offset0:52 offset1:142
	s_wait_loadcnt_dscnt 0x804
	v_mul_f64_e32 v[225:226], v[66:67], v[138:139]
	v_mul_f64_e32 v[138:139], v[20:21], v[138:139]
	v_fma_f64 v[30:31], v[30:31], v[64:65], v[233:234]
	v_fma_f64 v[64:65], v[160:161], v[64:65], -v[235:236]
	s_wait_loadcnt 0x7
	v_mul_f64_e32 v[160:161], v[68:69], v[130:131]
	v_fma_f64 v[26:27], v[26:27], v[92:93], v[188:189]
	v_fma_f64 v[54:55], v[54:55], v[92:93], -v[94:95]
	s_wait_loadcnt 0x4
	v_mul_f64_e32 v[94:95], v[44:45], v[126:127]
	v_fma_f64 v[28:29], v[28:29], v[88:89], v[176:177]
	v_mul_f64_e32 v[86:87], v[24:25], v[86:87]
	v_fma_f64 v[88:89], v[158:159], v[88:89], -v[90:91]
	s_wait_dscnt 0x3
	v_mul_f64_e32 v[90:91], v[58:59], v[118:119]
	v_mul_f64_e32 v[118:119], v[12:13], v[118:119]
	s_wait_dscnt 0x1
	v_mul_f64_e32 v[92:93], v[162:163], v[126:127]
	s_wait_loadcnt 0x3
	v_mul_f64_e32 v[126:127], v[60:61], v[122:123]
	v_mul_f64_e32 v[158:159], v[152:153], v[114:115]
	;; [unrolled: 1-line block ×4, first 2 shown]
	v_fma_f64 v[78:79], v[78:79], v[104:105], -v[106:107]
	v_fma_f64 v[18:19], v[18:19], v[96:97], v[182:183]
	v_add_f64_e32 v[176:177], v[0:1], v[82:83]
	v_fma_f64 v[62:63], v[172:173], v[96:97], -v[62:63]
	v_mul_f64_e32 v[96:97], v[14:15], v[122:123]
	s_wait_loadcnt 0x2
	v_mul_f64_e32 v[122:123], v[154:155], v[110:111]
	v_fma_f64 v[16:17], v[16:17], v[100:101], v[98:99]
	v_mul_f64_e32 v[98:99], v[50:51], v[110:111]
	v_fma_f64 v[110:111], v[10:11], v[132:133], v[196:197]
	v_fma_f64 v[80:81], v[80:81], v[132:133], -v[134:135]
	s_wait_loadcnt 0x1
	v_mul_f64_e32 v[132:133], v[164:165], v[142:143]
	s_wait_loadcnt_dscnt 0x0
	v_mul_f64_e32 v[134:135], v[168:169], v[146:147]
	v_fma_f64 v[172:173], v[8:9], v[104:105], v[223:224]
	v_mul_f64_e32 v[142:143], v[46:47], v[142:143]
	v_fma_f64 v[24:25], v[24:25], v[84:85], v[180:181]
	v_mul_f64_e32 v[146:147], v[6:7], v[146:147]
	v_add_f64_e32 v[104:105], v[74:75], v[38:39]
	ds_load_2addr_b64 v[8:11], v198 offset1:90
	v_add_f64_e32 v[180:181], v[2:3], v[74:75]
	global_wb scope:SCOPE_SE
	s_wait_dscnt 0x0
	v_fma_f64 v[20:21], v[20:21], v[136:137], v[225:226]
	v_fma_f64 v[66:67], v[66:67], v[136:137], -v[138:139]
	v_add_f64_e32 v[136:137], v[190:191], v[72:73]
	v_add_f64_e32 v[138:139], v[70:71], v[36:37]
	v_fma_f64 v[22:23], v[22:23], v[128:129], v[160:161]
	s_barrier_signal -1
	s_barrier_wait -1
	global_inv scope:SCOPE_SE
	v_add_f64_e32 v[182:183], v[4:5], v[28:29]
	v_fma_f64 v[52:53], v[52:53], v[84:85], -v[86:87]
	v_fma_f64 v[86:87], v[162:163], v[124:125], -v[94:95]
	v_fma_f64 v[12:13], v[12:13], v[116:117], v[90:91]
	v_fma_f64 v[58:59], v[58:59], v[116:117], -v[118:119]
	v_fma_f64 v[44:45], v[44:45], v[124:125], v[92:93]
	v_fma_f64 v[14:15], v[14:15], v[120:121], v[126:127]
	v_fma_f64 v[48:49], v[48:49], v[112:113], v[158:159]
	v_fma_f64 v[84:85], v[152:153], v[112:113], -v[114:115]
	v_fma_f64 v[90:91], v[170:171], v[100:101], -v[102:103]
	v_add_f64_e32 v[100:101], v[82:83], v[178:179]
	v_add_f64_e32 v[102:103], v[192:193], v[42:43]
	v_add_f64_e64 v[112:113], v[82:83], -v[194:195]
	v_add_f64_e64 v[114:115], v[178:179], -v[184:185]
	v_fma_f64 v[68:69], v[68:69], v[128:129], -v[130:131]
	v_fma_f64 v[50:51], v[50:51], v[108:109], v[122:123]
	v_fma_f64 v[60:61], v[60:61], v[120:121], -v[96:97]
	v_fma_f64 v[92:93], v[154:155], v[108:109], -v[98:99]
	v_add_f64_e32 v[98:99], v[194:195], v[184:185]
	v_add_f64_e64 v[116:117], v[30:31], -v[26:27]
	v_fma_f64 v[46:47], v[46:47], v[140:141], v[132:133]
	v_fma_f64 v[6:7], v[6:7], v[144:145], v[134:135]
	v_add_f64_e32 v[108:109], v[28:29], v[172:173]
	v_add_f64_e32 v[132:133], v[148:149], v[186:187]
	;; [unrolled: 1-line block ×4, first 2 shown]
	v_fma_f64 v[94:95], v[164:165], v[140:141], -v[142:143]
	v_fma_f64 v[96:97], v[168:169], v[144:145], -v[146:147]
	v_add_f64_e64 v[118:119], v[110:111], -v[18:19]
	v_add_f64_e64 v[120:121], v[64:65], -v[54:55]
	v_add_f64_e64 v[122:123], v[80:81], -v[62:63]
	v_add_f64_e64 v[124:125], v[194:195], -v[82:83]
	v_add_f64_e64 v[126:127], v[184:185], -v[178:179]
	v_add_f64_e64 v[140:141], v[26:27], -v[30:31]
	v_add_f64_e64 v[142:143], v[18:19], -v[110:111]
	v_add_f64_e64 v[144:145], v[54:55], -v[64:65]
	v_add_f64_e64 v[146:147], v[62:63], -v[80:81]
	v_add_f64_e64 v[152:153], v[74:75], -v[192:193]
	v_add_f64_e64 v[154:155], v[38:39], -v[42:43]
	v_add_f64_e32 v[128:129], v[26:27], v[18:19]
	v_add_f64_e32 v[130:131], v[30:31], v[110:111]
	v_add_f64_e64 v[158:159], v[20:21], -v[12:13]
	v_add_f64_e64 v[162:163], v[66:67], -v[58:59]
	;; [unrolled: 1-line block ×13, first 2 shown]
	v_add_f64_e32 v[237:238], v[8:9], v[150:151]
	v_add_f64_e32 v[112:113], v[112:113], v[114:115]
	v_fma_f64 v[98:99], v[98:99], -0.5, v[0:1]
	v_fma_f64 v[0:1], v[100:101], -0.5, v[0:1]
	v_add_f64_e64 v[233:234], v[46:47], -v[50:51]
	v_fma_f64 v[100:101], v[102:103], -0.5, v[2:3]
	v_fma_f64 v[2:3], v[104:105], -0.5, v[2:3]
	v_add_f64_e64 v[104:105], v[24:25], -v[28:29]
	;; [unrolled: 3-line block ×3, first 2 shown]
	v_fma_f64 v[132:133], v[132:133], -0.5, v[8:9]
	v_fma_f64 v[8:9], v[134:135], -0.5, v[8:9]
	;; [unrolled: 1-line block ×4, first 2 shown]
	v_add_f64_e64 v[138:139], v[14:15], -v[22:23]
	v_add_f64_e64 v[114:115], v[50:51], -v[46:47]
	;; [unrolled: 1-line block ×4, first 2 shown]
	v_add_f64_e32 v[116:117], v[116:117], v[118:119]
	v_add_f64_e64 v[118:119], v[60:61], -v[68:69]
	v_add_f64_e32 v[120:121], v[120:121], v[122:123]
	v_add_f64_e64 v[122:123], v[92:93], -v[94:95]
	v_add_f64_e32 v[124:125], v[124:125], v[126:127]
	v_add_f64_e32 v[126:127], v[12:13], v[48:49]
	;; [unrolled: 1-line block ×17, first 2 shown]
	v_add_f64_e64 v[225:226], v[150:151], -v[148:149]
	v_add_f64_e32 v[227:228], v[227:228], v[229:230]
	v_add_f64_e32 v[231:232], v[231:232], v[233:234]
	;; [unrolled: 1-line block ×3, first 2 shown]
	v_add_f64_e64 v[229:230], v[40:41], -v[186:187]
	v_fma_f64 v[128:129], v[128:129], -0.5, v[6:7]
	v_fma_f64 v[130:131], v[130:131], -0.5, v[6:7]
	v_add_f64_e32 v[6:7], v[6:7], v[30:31]
	v_add_f64_e32 v[104:105], v[104:105], v[108:109]
	v_add_f64_e64 v[108:109], v[148:149], -v[150:151]
	v_add_f64_e32 v[176:177], v[176:177], v[194:195]
	v_add_f64_e32 v[237:238], v[237:238], v[148:149]
	v_add_f64_e64 v[148:149], v[148:149], -v[186:187]
	v_add_f64_e64 v[30:31], v[30:31], -v[110:111]
	v_add_f64_e32 v[114:115], v[138:139], v[114:115]
	v_add_f64_e64 v[138:139], v[186:187], -v[40:41]
	v_add_f64_e32 v[102:103], v[235:236], v[102:103]
	v_add_f64_e32 v[235:236], v[156:157], v[20:21]
	v_add_f64_e64 v[64:65], v[64:65], -v[80:81]
	v_add_f64_e32 v[182:183], v[182:183], v[24:25]
	v_add_f64_e32 v[118:119], v[118:119], v[122:123]
	v_add_f64_e64 v[122:123], v[70:71], -v[190:191]
	v_fma_f64 v[126:127], v[126:127], -0.5, v[156:157]
	v_add_f64_e64 v[194:195], v[194:195], -v[184:185]
	v_fma_f64 v[142:143], v[142:143], -0.5, v[156:157]
	;; [unrolled: 2-line block ×4, first 2 shown]
	v_add_f64_e32 v[221:222], v[221:222], v[22:23]
	v_fma_f64 v[160:161], v[160:161], -0.5, v[96:97]
	v_add_f64_e32 v[10:11], v[10:11], v[70:71]
	v_fma_f64 v[96:97], v[164:165], -0.5, v[96:97]
	v_add_f64_e32 v[164:165], v[56:57], v[66:67]
	v_fma_f64 v[170:171], v[170:171], -0.5, v[56:57]
	v_add_f64_e32 v[180:181], v[180:181], v[192:193]
	v_fma_f64 v[56:57], v[196:197], -0.5, v[56:57]
	v_add_f64_e64 v[196:197], v[190:191], -v[70:71]
	v_add_f64_e64 v[150:151], v[150:151], -v[40:41]
	;; [unrolled: 1-line block ×4, first 2 shown]
	v_add_f64_e32 v[233:234], v[233:234], v[54:55]
	v_add_f64_e64 v[54:55], v[54:55], -v[62:63]
	v_add_f64_e32 v[225:226], v[225:226], v[229:230]
	v_add_f64_e64 v[229:230], v[72:73], -v[36:37]
	;; [unrolled: 2-line block ×3, first 2 shown]
	v_add_f64_e64 v[24:25], v[24:25], -v[16:17]
	v_add_f64_e32 v[176:177], v[176:177], v[184:185]
	v_add_f64_e64 v[192:193], v[192:193], -v[42:43]
	v_add_f64_e64 v[70:71], v[70:71], -v[36:37]
	;; [unrolled: 1-line block ×4, first 2 shown]
	v_add_f64_e32 v[108:109], v[108:109], v[138:139]
	v_add_f64_e32 v[138:139], v[68:69], v[94:95]
	v_add_f64_e32 v[235:236], v[235:236], v[12:13]
	v_add_f64_e64 v[12:13], v[12:13], -v[48:49]
	v_add_f64_e32 v[16:17], v[182:183], v[16:17]
	v_add_f64_e64 v[28:29], v[28:29], -v[172:173]
	v_add_f64_e32 v[186:187], v[237:238], v[186:187]
	v_add_f64_e32 v[122:123], v[122:123], v[156:157]
	;; [unrolled: 1-line block ×4, first 2 shown]
	v_add_f64_e64 v[14:15], v[14:15], -v[50:51]
	v_add_f64_e32 v[10:11], v[10:11], v[190:191]
	v_add_f64_e64 v[190:191], v[190:191], -v[72:73]
	v_add_f64_e32 v[164:165], v[164:165], v[58:59]
	;; [unrolled: 2-line block ×3, first 2 shown]
	v_fma_f64 v[180:181], v[150:151], s[18:19], v[98:99]
	v_fma_f64 v[98:99], v[150:151], s[0:1], v[98:99]
	v_add_f64_e32 v[62:63], v[233:234], v[62:63]
	v_fma_f64 v[184:185], v[54:55], s[0:1], v[130:131]
	v_fma_f64 v[130:131], v[54:55], s[18:19], v[130:131]
	v_add_f64_e32 v[196:197], v[196:197], v[229:230]
	;; [unrolled: 3-line block ×4, first 2 shown]
	v_add_f64_e64 v[178:179], v[88:89], -v[52:53]
	v_fma_f64 v[138:139], v[138:139], -0.5, v[76:77]
	v_add_f64_e32 v[48:49], v[235:236], v[48:49]
	v_fma_f64 v[235:236], v[30:31], s[0:1], v[160:161]
	v_fma_f64 v[160:161], v[30:31], s[18:19], v[160:161]
	;; [unrolled: 1-line block ×4, first 2 shown]
	v_add_f64_e32 v[16:17], v[16:17], v[172:173]
	v_add_f64_e32 v[40:41], v[186:187], v[40:41]
	v_fma_f64 v[156:157], v[156:157], -0.5, v[76:77]
	v_add_f64_e32 v[76:77], v[76:77], v[68:69]
	v_add_f64_e64 v[68:69], v[68:69], -v[94:95]
	v_add_f64_e32 v[50:51], v[221:222], v[50:51]
	v_fma_f64 v[221:222], v[64:65], s[18:19], v[128:129]
	v_fma_f64 v[128:129], v[64:65], s[0:1], v[128:129]
	v_add_f64_e32 v[10:11], v[10:11], v[72:73]
	v_add_f64_e32 v[72:73], v[164:165], v[84:85]
	;; [unrolled: 1-line block ×3, first 2 shown]
	v_fma_f64 v[180:181], v[148:149], s[16:17], v[180:181]
	v_fma_f64 v[98:99], v[148:149], s[12:13], v[98:99]
	v_add_f64_e32 v[148:149], v[88:89], v[78:79]
	v_fma_f64 v[184:185], v[64:65], s[16:17], v[184:185]
	v_fma_f64 v[64:65], v[64:65], s[12:13], v[130:131]
	v_fma_f64 v[130:131], v[20:21], s[0:1], v[56:57]
	v_fma_f64 v[229:230], v[150:151], s[16:17], v[229:230]
	v_fma_f64 v[0:1], v[150:151], s[12:13], v[0:1]
	v_fma_f64 v[150:151], v[58:59], s[0:1], v[142:143]
	v_fma_f64 v[142:143], v[58:59], s[18:19], v[142:143]
	v_fma_f64 v[56:57], v[20:21], s[18:19], v[56:57]
	v_fma_f64 v[18:19], v[30:31], s[12:13], v[18:19]
	v_fma_f64 v[30:31], v[30:31], s[16:17], v[96:97]
	v_add_f64_e32 v[6:7], v[6:7], v[110:111]
	v_add_f64_e64 v[110:111], v[78:79], -v[90:91]
	v_fma_f64 v[96:97], v[14:15], s[18:19], v[138:139]
	v_fma_f64 v[138:139], v[14:15], s[0:1], v[138:139]
	;; [unrolled: 1-line block ×8, first 2 shown]
	v_add_f64_e32 v[44:45], v[48:49], v[44:45]
	v_add_f64_e64 v[48:49], v[90:91], -v[78:79]
	v_fma_f64 v[160:161], v[22:23], s[0:1], v[156:157]
	v_fma_f64 v[156:157], v[22:23], s[18:19], v[156:157]
	v_add_f64_e32 v[46:47], v[50:51], v[46:47]
	v_fma_f64 v[221:222], v[54:55], s[16:17], v[221:222]
	v_fma_f64 v[54:55], v[54:55], s[12:13], v[128:129]
	v_add_f64_e64 v[128:129], v[60:61], -v[92:93]
	v_add_f64_e32 v[60:61], v[76:77], v[60:61]
	v_fma_f64 v[76:77], v[82:83], s[0:1], v[132:133]
	v_fma_f64 v[132:133], v[82:83], s[18:19], v[132:133]
	v_add_f64_e32 v[10:11], v[10:11], v[36:37]
	v_fma_f64 v[42:43], v[112:113], s[14:15], v[180:181]
	v_fma_f64 v[98:99], v[112:113], s[14:15], v[98:99]
	v_fma_f64 v[148:149], v[148:149], -0.5, v[166:167]
	v_fma_f64 v[64:65], v[140:141], s[14:15], v[64:65]
	v_fma_f64 v[130:131], v[12:13], s[12:13], v[130:131]
	;; [unrolled: 1-line block ×5, first 2 shown]
	v_add_f64_e64 v[142:143], v[52:53], -v[90:91]
	v_fma_f64 v[12:13], v[12:13], s[16:17], v[56:57]
	v_fma_f64 v[56:57], v[190:191], s[0:1], v[2:3]
	;; [unrolled: 1-line block ×6, first 2 shown]
	v_add_f64_e64 v[138:139], v[88:89], -v[78:79]
	v_fma_f64 v[235:236], v[120:121], s[14:15], v[235:236]
	v_fma_f64 v[26:27], v[120:121], s[14:15], v[26:27]
	;; [unrolled: 1-line block ×16, first 2 shown]
	v_add_f64_e32 v[223:224], v[52:53], v[90:91]
	v_add_f64_e32 v[50:51], v[176:177], v[6:7]
	v_add_f64_e64 v[6:7], v[176:177], -v[6:7]
	v_fma_f64 v[76:77], v[194:195], s[12:13], v[76:77]
	v_fma_f64 v[132:133], v[194:195], s[16:17], v[132:133]
	v_add_f64_e32 v[60:61], v[60:61], v[92:93]
	v_fma_f64 v[130:131], v[162:163], s[14:15], v[130:131]
	v_fma_f64 v[150:151], v[188:189], s[14:15], v[150:151]
	v_fma_f64 v[66:67], v[188:189], s[14:15], v[66:67]
	v_fma_f64 v[12:13], v[162:163], s[14:15], v[12:13]
	v_fma_f64 v[56:57], v[70:71], s[16:17], v[56:57]
	v_fma_f64 v[2:3], v[70:71], s[12:13], v[2:3]
	v_fma_f64 v[70:71], v[142:143], s[0:1], v[4:5]
	v_fma_f64 v[4:5], v[142:143], s[18:19], v[4:5]
	v_fma_f64 v[162:163], v[140:141], s[14:15], v[184:185]
	v_fma_f64 v[126:127], v[138:139], s[18:19], v[106:107]
	v_fma_f64 v[106:107], v[138:139], s[0:1], v[106:107]
	v_fma_f64 v[96:97], v[118:119], s[14:15], v[96:97]
	v_fma_f64 v[120:121], v[128:129], s[16:17], v[120:121]
	v_fma_f64 v[128:129], v[128:129], s[12:13], v[146:147]
	v_fma_f64 v[146:147], v[116:117], s[14:15], v[221:222]
	v_mul_f64_e32 v[116:117], s[18:19], v[18:19]
	v_fma_f64 v[22:23], v[118:119], s[14:15], v[22:23]
	v_fma_f64 v[140:141], v[102:103], s[14:15], v[160:161]
	;; [unrolled: 1-line block ×3, first 2 shown]
	v_mul_f64_e32 v[102:103], s[16:17], v[235:236]
	v_mul_f64_e32 v[160:161], s[18:19], v[30:31]
	v_fma_f64 v[118:119], v[158:159], s[14:15], v[170:171]
	v_mul_f64_e32 v[170:171], s[16:17], v[26:27]
	v_fma_f64 v[156:157], v[68:69], s[16:17], v[156:157]
	v_fma_f64 v[68:69], v[68:69], s[12:13], v[154:155]
	;; [unrolled: 1-line block ×3, first 2 shown]
	v_mul_f64_e32 v[188:189], s[18:19], v[182:183]
	v_mul_f64_e32 v[221:222], s[18:19], v[20:21]
	v_add_f64_e32 v[154:155], v[166:167], v[88:89]
	v_fma_f64 v[100:101], v[190:191], s[12:13], v[100:101]
	v_fma_f64 v[58:59], v[158:159], s[14:15], v[58:59]
	v_fma_f64 v[223:224], v[223:224], -0.5, v[166:167]
	v_add_f64_e64 v[88:89], v[52:53], -v[88:89]
	v_fma_f64 v[166:167], v[74:75], s[0:1], v[134:135]
	v_fma_f64 v[190:191], v[24:25], s[18:19], v[148:149]
	v_mul_f64_e32 v[184:185], s[16:17], v[130:131]
	v_fma_f64 v[148:149], v[24:25], s[0:1], v[148:149]
	v_fma_f64 v[134:135], v[74:75], s[18:19], v[134:135]
	v_mul_f64_e32 v[18:19], s[14:15], v[18:19]
	v_mul_f64_e32 v[30:31], s[22:23], v[30:31]
	s_wait_alu 0xfffe
	v_mul_f64_e32 v[26:27], s[20:21], v[26:27]
	v_mul_f64_e32 v[20:21], s[22:23], v[20:21]
	v_fma_f64 v[56:57], v[168:169], s[14:15], v[56:57]
	v_fma_f64 v[2:3], v[168:169], s[14:15], v[2:3]
	;; [unrolled: 1-line block ×7, first 2 shown]
	v_mul_f64_e32 v[142:143], s[16:17], v[12:13]
	v_fma_f64 v[120:121], v[231:232], s[14:15], v[120:121]
	v_mul_f64_e32 v[12:13], s[20:21], v[12:13]
	v_fma_f64 v[112:113], v[162:163], s[14:15], v[116:117]
	v_mul_f64_e32 v[158:159], s[18:19], v[22:23]
	v_mul_f64_e32 v[22:23], s[22:23], v[22:23]
	;; [unrolled: 1-line block ×3, first 2 shown]
	v_fma_f64 v[102:103], v[146:147], s[24:25], v[102:103]
	v_fma_f64 v[116:117], v[64:65], s[22:23], v[160:161]
	v_mul_f64_e32 v[14:15], s[20:21], v[14:15]
	v_fma_f64 v[160:161], v[54:55], s[20:21], v[170:171]
	v_fma_f64 v[124:125], v[114:115], s[14:15], v[156:157]
	;; [unrolled: 1-line block ×4, first 2 shown]
	v_mul_f64_e32 v[128:129], s[16:17], v[140:141]
	v_fma_f64 v[144:145], v[152:153], s[14:15], v[144:145]
	v_mul_f64_e32 v[156:157], s[18:19], v[96:97]
	v_fma_f64 v[170:171], v[150:151], s[14:15], v[188:189]
	v_add_f64_e32 v[52:53], v[154:155], v[52:53]
	v_fma_f64 v[154:155], v[194:195], s[18:19], v[8:9]
	v_fma_f64 v[8:9], v[194:195], s[0:1], v[8:9]
	;; [unrolled: 1-line block ×9, first 2 shown]
	v_add_f64_e32 v[48:49], v[88:89], v[48:49]
	v_mul_f64_e32 v[88:89], s[24:25], v[140:141]
	v_fma_f64 v[134:135], v[192:193], s[16:17], v[134:135]
	v_fma_f64 v[18:19], v[162:163], s[0:1], v[18:19]
	;; [unrolled: 1-line block ×8, first 2 shown]
	v_add_f64_e32 v[142:143], v[38:39], v[44:45]
	v_add_f64_e64 v[38:39], v[38:39], -v[44:45]
	v_add_f64_e32 v[44:45], v[16:17], v[46:47]
	v_add_f64_e64 v[16:17], v[16:17], -v[46:47]
	v_fma_f64 v[26:27], v[54:55], s[12:13], v[26:27]
	v_fma_f64 v[20:21], v[66:67], s[0:1], v[20:21]
	;; [unrolled: 1-line block ×3, first 2 shown]
	v_add_f64_e32 v[172:173], v[42:43], v[102:103]
	v_add_f64_e64 v[42:43], v[42:43], -v[102:103]
	v_add_f64_e32 v[102:103], v[138:139], v[112:113]
	v_add_f64_e64 v[112:113], v[138:139], -v[112:113]
	;; [unrolled: 2-line block ×3, first 2 shown]
	v_add_f64_e32 v[116:117], v[98:99], v[160:161]
	v_fma_f64 v[128:129], v[120:121], s[24:25], v[128:129]
	v_add_f64_e64 v[98:99], v[98:99], -v[160:161]
	v_fma_f64 v[152:153], v[124:125], s[14:15], v[156:157]
	v_fma_f64 v[156:157], v[68:69], s[22:23], v[158:159]
	;; [unrolled: 1-line block ×3, first 2 shown]
	v_add_f64_e32 v[176:177], v[56:57], v[170:171]
	v_fma_f64 v[154:155], v[82:83], s[12:13], v[154:155]
	v_fma_f64 v[8:9], v[82:83], s[16:17], v[8:9]
	;; [unrolled: 1-line block ×3, first 2 shown]
	v_add_f64_e32 v[160:161], v[144:145], v[168:169]
	v_add_f64_e32 v[180:181], v[2:3], v[184:185]
	v_fma_f64 v[166:167], v[74:75], s[12:13], v[188:189]
	v_fma_f64 v[74:75], v[74:75], s[16:17], v[136:137]
	v_add_f64_e64 v[46:47], v[144:145], -v[168:169]
	v_mul_f64_e32 v[144:145], s[24:25], v[235:236]
	v_add_f64_e64 v[56:57], v[56:57], -v[170:171]
	v_add_f64_e64 v[2:3], v[2:3], -v[184:185]
	ds_store_2addr_b64 v34, v[50:51], v[172:173] offset1:3
	ds_store_2addr_b64 v34, v[102:103], v[138:139] offset0:6 offset1:9
	ds_store_2addr_b64 v34, v[116:117], v[6:7] offset0:12 offset1:15
	;; [unrolled: 1-line block ×4, first 2 shown]
	ds_store_2addr_b64 v33, v[142:143], v[160:161] offset1:3
	ds_store_2addr_b64 v33, v[176:177], v[180:181] offset0:6 offset1:9
	v_add_f64_e32 v[136:137], v[100:101], v[126:127]
	v_add_f64_e64 v[100:101], v[100:101], -v[126:127]
	v_add_f64_e32 v[126:127], v[104:105], v[128:129]
	v_mul_f64_e32 v[0:1], s[24:25], v[130:131]
	v_mul_f64_e32 v[6:7], s[14:15], v[182:183]
	v_add_f64_e32 v[42:43], v[178:179], v[110:111]
	v_fma_f64 v[50:51], v[24:25], s[12:13], v[84:85]
	v_add_f64_e32 v[52:53], v[52:53], v[90:91]
	v_fma_f64 v[24:25], v[24:25], s[16:17], v[164:165]
	v_fma_f64 v[84:85], v[28:29], s[12:13], v[190:191]
	;; [unrolled: 1-line block ×3, first 2 shown]
	v_mul_f64_e32 v[90:91], s[14:15], v[96:97]
	ds_store_2addr_b64 v33, v[136:137], v[38:39] offset0:12 offset1:15
	ds_store_2addr_b64 v33, v[46:47], v[56:57] offset0:18 offset1:21
	;; [unrolled: 1-line block ×3, first 2 shown]
	ds_store_2addr_b64 v32, v[44:45], v[126:127] offset1:3
	v_add_f64_e32 v[38:39], v[62:63], v[80:81]
	v_fma_f64 v[44:45], v[146:147], s[12:13], v[144:145]
	v_fma_f64 v[46:47], v[225:226], s[14:15], v[76:77]
	v_add_f64_e32 v[168:169], v[70:71], v[152:153]
	v_add_f64_e32 v[170:171], v[4:5], v[156:157]
	v_fma_f64 v[56:57], v[225:226], s[14:15], v[132:133]
	v_fma_f64 v[62:63], v[108:109], s[14:15], v[154:155]
	;; [unrolled: 1-line block ×3, first 2 shown]
	v_add_f64_e32 v[184:185], v[106:107], v[158:159]
	v_add_f64_e64 v[92:93], v[104:105], -v[128:129]
	v_add_f64_e64 v[70:71], v[70:71], -v[152:153]
	v_fma_f64 v[35:36], v[122:123], s[14:15], v[82:83]
	v_add_f64_e32 v[76:77], v[72:73], v[86:87]
	v_fma_f64 v[82:83], v[118:119], s[12:13], v[0:1]
	v_add_f64_e64 v[4:5], v[4:5], -v[156:157]
	v_add_f64_e64 v[96:97], v[106:107], -v[158:159]
	v_fma_f64 v[64:65], v[196:197], s[14:15], v[166:167]
	v_fma_f64 v[80:81], v[196:197], s[14:15], v[74:75]
	;; [unrolled: 1-line block ×3, first 2 shown]
	v_add_f64_e32 v[52:53], v[52:53], v[78:79]
	v_fma_f64 v[50:51], v[42:43], s[14:15], v[50:51]
	v_fma_f64 v[24:25], v[42:43], s[14:15], v[24:25]
	v_fma_f64 v[42:43], v[48:49], s[14:15], v[84:85]
	v_add_f64_e32 v[58:59], v[60:61], v[94:95]
	v_fma_f64 v[28:29], v[48:49], s[14:15], v[28:29]
	v_fma_f64 v[48:49], v[120:121], s[12:13], v[88:89]
	;; [unrolled: 1-line block ×6, first 2 shown]
	ds_store_2addr_b64 v32, v[168:169], v[170:171] offset0:6 offset1:9
	ds_store_2addr_b64 v32, v[184:185], v[16:17] offset0:12 offset1:15
	;; [unrolled: 1-line block ×4, first 2 shown]
	v_add_f64_e32 v[66:67], v[40:41], v[38:39]
	v_add_f64_e32 v[68:69], v[46:47], v[44:45]
	v_add_f64_e64 v[37:38], v[40:41], -v[38:39]
	v_add_f64_e64 v[39:40], v[46:47], -v[44:45]
	v_add_f64_e32 v[44:45], v[62:63], v[18:19]
	v_add_f64_e64 v[46:47], v[62:63], -v[18:19]
	v_add_f64_e32 v[62:63], v[8:9], v[30:31]
	v_add_f64_e32 v[70:71], v[56:57], v[26:27]
	v_add_f64_e64 v[30:31], v[8:9], -v[30:31]
	v_add_f64_e64 v[26:27], v[56:57], -v[26:27]
	v_add_f64_e32 v[56:57], v[10:11], v[76:77]
	v_add_f64_e32 v[94:95], v[35:36], v[82:83]
	;; [unrolled: 1-line block ×5, first 2 shown]
	v_add_f64_e64 v[52:53], v[52:53], -v[58:59]
	v_add_f64_e32 v[58:59], v[50:51], v[48:49]
	v_add_f64_e32 v[122:123], v[42:43], v[60:61]
	v_add_f64_e64 v[48:49], v[50:51], -v[48:49]
	v_add_f64_e64 v[41:42], v[42:43], -v[60:61]
	;; [unrolled: 1-line block ×3, first 2 shown]
	v_add_f64_e32 v[102:103], v[54:55], v[12:13]
	v_add_f64_e32 v[124:125], v[28:29], v[22:23]
	;; [unrolled: 1-line block ×3, first 2 shown]
	v_add_f64_e64 v[28:29], v[28:29], -v[22:23]
	v_add_f64_e64 v[24:25], v[24:25], -v[14:15]
	;; [unrolled: 1-line block ×6, first 2 shown]
	v_mul_lo_u16 v43, 0x89, v202
	global_wb scope:SCOPE_SE
	s_wait_dscnt 0x0
	s_barrier_signal -1
	s_barrier_wait -1
	global_inv scope:SCOPE_SE
	v_lshrrev_b16 v186, 12, v43
	v_mul_lo_u16 v43, 0x89, v203
	ds_load_2addr_b64 v[4:7], v198 offset1:90
	ds_load_2addr_b64 v[0:3], v199 offset0:52 offset1:142
	ds_load_2addr_b64 v[72:75], v208 offset0:28 offset1:118
	;; [unrolled: 1-line block ×14, first 2 shown]
	global_wb scope:SCOPE_SE
	s_wait_dscnt 0x0
	v_lshrrev_b16 v191, 12, v43
	s_barrier_signal -1
	s_barrier_wait -1
	global_inv scope:SCOPE_SE
	ds_store_2addr_b64 v34, v[66:67], v[68:69] offset1:3
	ds_store_2addr_b64 v34, v[44:45], v[62:63] offset0:6 offset1:9
	v_mul_lo_u16 v44, v186, 30
	ds_store_2addr_b64 v34, v[70:71], v[37:38] offset0:12 offset1:15
	ds_store_2addr_b64 v34, v[39:40], v[46:47] offset0:18 offset1:21
	;; [unrolled: 1-line block ×3, first 2 shown]
	ds_store_2addr_b64 v33, v[56:57], v[94:95] offset1:3
	v_mul_lo_u16 v27, v191, 30
	ds_store_2addr_b64 v33, v[96:97], v[98:99] offset0:6 offset1:9
	ds_store_2addr_b64 v33, v[102:103], v[88:89] offset0:12 offset1:15
	;; [unrolled: 1-line block ×4, first 2 shown]
	v_sub_nc_u16 v26, v204, v44
	v_sub_nc_u16 v27, v218, v27
	ds_store_2addr_b64 v32, v[120:121], v[58:59] offset1:3
	ds_store_2addr_b64 v32, v[122:123], v[124:125] offset0:6 offset1:9
	ds_store_2addr_b64 v32, v[126:127], v[52:53] offset0:12 offset1:15
	;; [unrolled: 1-line block ×4, first 2 shown]
	global_wb scope:SCOPE_SE
	s_wait_dscnt 0x0
	v_and_b32_e32 v189, 0xff, v26
	v_and_b32_e32 v190, 0xff, v27
	s_barrier_signal -1
	s_barrier_wait -1
	global_inv scope:SCOPE_SE
	v_mul_u32_u24_e32 v26, 9, v189
	v_mul_u32_u24_e32 v24, 9, v190
	s_delay_alu instid0(VALU_DEP_2) | instskip(NEXT) | instid1(VALU_DEP_2)
	v_lshlrev_b32_e32 v56, 4, v26
	v_lshlrev_b32_e32 v32, 4, v24
	s_clause 0x7
	global_load_b128 v[94:97], v56, s[8:9] offset:448
	global_load_b128 v[98:101], v32, s[8:9] offset:448
	global_load_b128 v[120:123], v56, s[8:9] offset:480
	global_load_b128 v[128:131], v32, s[8:9] offset:480
	global_load_b128 v[132:135], v56, s[8:9] offset:512
	global_load_b128 v[152:155], v32, s[8:9] offset:512
	global_load_b128 v[156:159], v56, s[8:9] offset:544
	global_load_b128 v[160:163], v32, s[8:9] offset:544
	v_mul_u32_u24_e32 v24, 0x8889, v220
	s_delay_alu instid0(VALU_DEP_1) | instskip(NEXT) | instid1(VALU_DEP_1)
	v_lshrrev_b32_e32 v187, 20, v24
	v_mul_lo_u16 v24, v187, 30
	s_delay_alu instid0(VALU_DEP_1) | instskip(NEXT) | instid1(VALU_DEP_1)
	v_sub_nc_u16 v24, v219, v24
	v_and_b32_e32 v188, 0xffff, v24
	s_delay_alu instid0(VALU_DEP_1) | instskip(SKIP_1) | instid1(VALU_DEP_2)
	v_mul_u32_u24_e32 v24, 9, v188
	v_lshlrev_b32_e32 v188, 3, v188
	v_lshlrev_b32_e32 v57, 4, v24
	s_clause 0x12
	global_load_b128 v[164:167], v32, s[8:9] offset:432
	global_load_b128 v[168:171], v57, s[8:9] offset:432
	;; [unrolled: 1-line block ×19, first 2 shown]
	ds_load_2addr_b64 v[136:139], v208 offset0:28 offset1:118
	ds_load_2addr_b64 v[148:151], v206 offset0:56 offset1:146
	;; [unrolled: 1-line block ×5, first 2 shown]
	s_wait_loadcnt_dscnt 0x1a04
	v_mul_f64_e32 v[88:89], v[136:137], v[96:97]
	s_wait_loadcnt 0x19
	v_mul_f64_e32 v[126:127], v[138:139], v[100:101]
	v_mul_f64_e32 v[140:141], v[74:75], v[100:101]
	ds_load_2addr_b64 v[100:103], v212 offset0:84 offset1:174
	v_mul_f64_e32 v[96:97], v[72:73], v[96:97]
	s_wait_loadcnt_dscnt 0x1804
	v_mul_f64_e32 v[142:143], v[148:149], v[122:123]
	v_mul_f64_e32 v[122:123], v[80:81], v[122:123]
	s_wait_loadcnt 0x17
	v_mul_f64_e32 v[144:145], v[150:151], v[130:131]
	v_mul_f64_e32 v[130:131], v[82:83], v[130:131]
	s_wait_loadcnt_dscnt 0x1600
	v_mul_f64_e32 v[172:173], v[100:101], v[134:135]
	s_wait_loadcnt 0x15
	v_mul_f64_e32 v[184:185], v[102:103], v[154:155]
	v_mul_f64_e32 v[134:135], v[84:85], v[134:135]
	;; [unrolled: 1-line block ×3, first 2 shown]
	s_wait_loadcnt 0x10
	v_mul_f64_e32 v[196:197], v[238:239], v[178:179]
	v_mul_f64_e32 v[178:179], v[106:107], v[178:179]
	s_wait_loadcnt 0xf
	v_mul_f64_e32 v[202:203], v[236:237], v[182:183]
	v_mul_f64_e32 v[182:183], v[104:105], v[182:183]
	v_fma_f64 v[124:125], v[72:73], v[94:95], v[88:89]
	v_fma_f64 v[126:127], v[74:75], v[98:99], v[126:127]
	v_fma_f64 v[138:139], v[138:139], v[98:99], -v[140:141]
	v_mul_f64_e32 v[98:99], v[92:93], v[162:163]
	v_fma_f64 v[136:137], v[136:137], v[94:95], -v[96:97]
	v_mul_f64_e32 v[94:95], v[90:91], v[158:159]
	v_mul_f64_e32 v[88:89], v[228:229], v[158:159]
	;; [unrolled: 1-line block ×3, first 2 shown]
	ds_load_2addr_b64 v[72:75], v207 offset0:108 offset1:198
	v_fma_f64 v[146:147], v[80:81], v[120:121], v[142:143]
	v_fma_f64 v[142:143], v[148:149], v[120:121], -v[122:123]
	v_mul_f64_e32 v[158:159], v[232:233], v[166:167]
	v_mul_f64_e32 v[162:163], v[76:77], v[166:167]
	v_fma_f64 v[144:145], v[82:83], v[128:129], v[144:145]
	v_mul_f64_e32 v[166:167], v[234:235], v[170:171]
	v_fma_f64 v[140:141], v[150:151], v[128:129], -v[130:131]
	ds_load_2addr_b64 v[80:83], v205 offset0:8 offset1:98
	v_mul_f64_e32 v[170:171], v[78:79], v[170:171]
	v_fma_f64 v[150:151], v[84:85], v[132:133], v[172:173]
	v_fma_f64 v[148:149], v[86:87], v[152:153], v[184:185]
	ds_load_2addr_b64 v[84:87], v211 offset0:36 offset1:126
	v_fma_f64 v[134:135], v[100:101], v[132:133], -v[134:135]
	v_fma_f64 v[132:133], v[102:103], v[152:153], -v[154:155]
	s_wait_loadcnt_dscnt 0xe02
	v_mul_f64_e32 v[184:185], v[74:75], v[194:195]
	v_mul_f64_e32 v[194:195], v[118:119], v[194:195]
	s_wait_loadcnt 0xd
	v_mul_f64_e32 v[240:241], v[72:73], v[26:27]
	s_wait_loadcnt 0x8
	v_mul_f64_e32 v[172:173], v[12:13], v[70:71]
	s_wait_dscnt 0x1
	v_mul_f64_e32 v[242:243], v[80:81], v[30:31]
	v_fma_f64 v[122:123], v[230:231], v[160:161], -v[98:99]
	v_fma_f64 v[120:121], v[228:229], v[156:157], -v[94:95]
	v_mul_f64_e32 v[228:229], v[82:83], v[222:223]
	v_mul_f64_e32 v[222:223], v[114:115], v[222:223]
	s_wait_dscnt 0x0
	v_mul_f64_e32 v[230:231], v[84:85], v[46:47]
	v_mul_f64_e32 v[244:245], v[86:87], v[226:227]
	;; [unrolled: 1-line block ×3, first 2 shown]
	v_fma_f64 v[128:129], v[90:91], v[156:157], v[88:89]
	ds_load_2addr_b64 v[88:91], v217 offset0:132 offset1:222
	v_fma_f64 v[130:131], v[92:93], v[160:161], v[96:97]
	ds_load_2addr_b64 v[92:95], v215 offset0:160 offset1:250
	v_fma_f64 v[156:157], v[76:77], v[164:165], v[158:159]
	v_fma_f64 v[158:159], v[78:79], v[168:169], v[166:167]
	ds_load_2addr_b64 v[96:99], v213 offset0:60 offset1:150
	ds_load_2addr_b64 v[100:103], v216 offset0:88 offset1:178
	;; [unrolled: 1-line block ×3, first 2 shown]
	v_fma_f64 v[154:155], v[232:233], v[164:165], -v[162:163]
	v_fma_f64 v[152:153], v[234:235], v[168:169], -v[170:171]
	v_fma_f64 v[160:161], v[106:107], v[176:177], v[196:197]
	v_fma_f64 v[106:107], v[238:239], v[176:177], -v[178:179]
	s_wait_loadcnt 0x7
	v_mul_f64_e32 v[176:177], v[14:15], v[62:63]
	v_mul_f64_e32 v[178:179], v[116:117], v[26:27]
	s_wait_loadcnt 0x6
	v_mul_f64_e32 v[164:165], v[8:9], v[54:55]
	s_wait_loadcnt 0x5
	v_mul_f64_e32 v[170:171], v[10:11], v[50:51]
	v_mul_u32_u24_e32 v197, 0x960, v187
	s_wait_dscnt 0x4
	v_mul_f64_e32 v[162:163], v[88:89], v[70:71]
	v_mul_f64_e32 v[166:167], v[90:91], v[62:63]
	v_fma_f64 v[70:71], v[104:105], v[180:181], v[202:203]
	v_fma_f64 v[62:63], v[236:237], v[180:181], -v[182:183]
	s_wait_dscnt 0x3
	v_mul_f64_e32 v[180:181], v[92:93], v[54:55]
	v_mul_f64_e32 v[168:169], v[94:95], v[50:51]
	v_fma_f64 v[104:105], v[118:119], v[192:193], v[184:185]
	v_fma_f64 v[54:55], v[74:75], v[192:193], -v[194:195]
	s_wait_loadcnt_dscnt 0x402
	v_mul_f64_e32 v[182:183], v[96:97], v[38:39]
	v_mul_f64_e32 v[118:119], v[20:21], v[38:39]
	v_fma_f64 v[50:51], v[116:117], v[24:25], v[240:241]
	v_mul_f64_e32 v[116:117], v[112:113], v[30:31]
	v_mul_f64_e32 v[184:185], v[108:109], v[46:47]
	v_fma_f64 v[74:75], v[114:115], v[220:221], v[228:229]
	v_fma_f64 v[46:47], v[82:83], v[220:221], -v[222:223]
	s_wait_loadcnt_dscnt 0x301
	v_mul_f64_e32 v[82:83], v[100:101], v[42:43]
	v_mul_f64_e32 v[42:43], v[16:17], v[42:43]
	v_fma_f64 v[38:39], v[112:113], v[28:29], v[242:243]
	s_wait_loadcnt 0x2
	v_mul_f64_e32 v[112:113], v[98:99], v[34:35]
	v_mul_f64_e32 v[114:115], v[22:23], v[34:35]
	v_fma_f64 v[30:31], v[108:109], v[44:45], v[230:231]
	v_fma_f64 v[34:35], v[110:111], v[224:225], v[244:245]
	s_wait_loadcnt 0x1
	v_mul_f64_e32 v[108:109], v[102:103], v[66:67]
	v_mul_f64_e32 v[66:67], v[18:19], v[66:67]
	v_fma_f64 v[26:27], v[86:87], v[224:225], -v[226:227]
	s_wait_loadcnt_dscnt 0x0
	v_mul_f64_e32 v[86:87], v[78:79], v[58:59]
	v_mul_f64_e32 v[58:59], v[2:3], v[58:59]
	v_and_b32_e32 v110, 0xffff, v186
	v_and_b32_e32 v111, 0xffff, v191
	v_add_f64_e64 v[220:221], v[144:145], -v[126:127]
	v_fma_f64 v[24:25], v[72:73], v[24:25], -v[178:179]
	v_add_f64_e32 v[72:73], v[126:127], v[130:131]
	v_mul_u32_u24_e32 v110, 0x960, v110
	v_mul_u32_u24_e32 v186, 0x960, v111
	v_lshlrev_b32_e32 v111, 3, v189
	v_lshlrev_b32_e32 v189, 3, v190
	v_add_f64_e64 v[222:223], v[148:149], -v[130:131]
	v_fma_f64 v[12:13], v[12:13], v[68:69], v[162:163]
	v_fma_f64 v[68:69], v[88:89], v[68:69], -v[172:173]
	v_fma_f64 v[14:15], v[14:15], v[60:61], v[166:167]
	v_fma_f64 v[60:61], v[90:91], v[60:61], -v[176:177]
	;; [unrolled: 2-line block ×5, first 2 shown]
	v_add_f64_e32 v[88:89], v[138:139], v[122:123]
	v_fma_f64 v[28:29], v[80:81], v[28:29], -v[116:117]
	v_fma_f64 v[44:45], v[84:85], v[44:45], -v[184:185]
	v_add_f64_e32 v[84:85], v[136:137], v[120:121]
	v_add_f64_e64 v[90:91], v[124:125], -v[146:147]
	v_fma_f64 v[16:17], v[16:17], v[40:41], v[82:83]
	v_fma_f64 v[40:41], v[100:101], v[40:41], -v[42:43]
	v_add_f64_e32 v[82:83], v[142:143], v[134:135]
	v_fma_f64 v[22:23], v[22:23], v[32:33], v[112:113]
	v_fma_f64 v[32:33], v[98:99], v[32:33], -v[114:115]
	v_add_f64_e32 v[80:81], v[70:71], v[30:31]
	v_add_f64_e64 v[92:93], v[128:129], -v[150:151]
	v_fma_f64 v[18:19], v[18:19], v[64:65], v[108:109]
	v_fma_f64 v[42:43], v[102:103], v[64:65], -v[66:67]
	v_add_f64_e64 v[94:95], v[160:161], -v[104:105]
	v_fma_f64 v[2:3], v[2:3], v[56:57], v[86:87]
	v_fma_f64 v[56:57], v[78:79], v[56:57], -v[58:59]
	v_add_f64_e32 v[78:79], v[50:51], v[38:39]
	v_add_f64_e32 v[86:87], v[140:141], v[132:133]
	v_add_f64_e64 v[96:97], v[34:35], -v[74:75]
	v_add_f64_e64 v[98:99], v[106:107], -v[54:55]
	;; [unrolled: 1-line block ×3, first 2 shown]
	v_add_f64_e32 v[58:59], v[146:147], v[150:151]
	v_add_f64_e32 v[64:65], v[124:125], v[128:129]
	;; [unrolled: 1-line block ×3, first 2 shown]
	v_add3_u32 v111, 0, v110, v111
	v_add3_u32 v110, 0, v186, v189
	ds_load_2addr_b64 v[189:192], v198 offset1:90
	v_add_f64_e64 v[108:109], v[104:105], -v[160:161]
	v_add_f64_e64 v[112:113], v[74:75], -v[34:35]
	;; [unrolled: 1-line block ×10, first 2 shown]
	v_add_f64_e32 v[184:185], v[0:1], v[70:71]
	v_add_f64_e64 v[238:239], v[50:51], -v[70:71]
	v_add_f64_e64 v[240:241], v[48:49], -v[60:61]
	v_add_f64_e32 v[102:103], v[4:5], v[124:125]
	v_add_f64_e32 v[168:169], v[6:7], v[126:127]
	v_add_f64_e64 v[178:179], v[16:17], -v[20:21]
	v_add_f64_e64 v[182:183], v[40:41], -v[36:37]
	;; [unrolled: 1-line block ×4, first 2 shown]
	s_wait_dscnt 0x0
	v_add_f64_e32 v[193:194], v[189:190], v[136:137]
	v_add_f64_e32 v[195:196], v[191:192], v[138:139]
	v_fma_f64 v[82:83], v[82:83], -0.5, v[189:190]
	v_fma_f64 v[84:85], v[84:85], -0.5, v[189:190]
	;; [unrolled: 1-line block ×3, first 2 shown]
	v_add_f64_e64 v[189:190], v[38:39], -v[30:31]
	v_add_f64_e32 v[90:91], v[90:91], v[92:93]
	v_add_f64_e64 v[92:93], v[32:33], -v[42:43]
	v_fma_f64 v[78:79], v[78:79], -0.5, v[0:1]
	v_fma_f64 v[0:1], v[80:81], -0.5, v[0:1]
	v_add_f64_e64 v[80:81], v[10:11], -v[14:15]
	v_fma_f64 v[86:87], v[86:87], -0.5, v[191:192]
	v_add_f64_e64 v[191:192], v[22:23], -v[18:19]
	v_add_f64_e32 v[94:95], v[94:95], v[96:97]
	v_add_f64_e64 v[96:97], v[136:137], -v[142:143]
	v_add_f64_e32 v[98:99], v[98:99], v[100:101]
	v_add_f64_e64 v[100:101], v[120:121], -v[134:135]
	v_add_f64_e64 v[226:227], v[52:53], -v[68:69]
	;; [unrolled: 1-line block ×7, first 2 shown]
	v_fma_f64 v[58:59], v[58:59], -0.5, v[4:5]
	v_fma_f64 v[4:5], v[64:65], -0.5, v[4:5]
	;; [unrolled: 1-line block ×4, first 2 shown]
	v_add_f64_e64 v[66:67], v[60:61], -v[48:49]
	v_add_f64_e64 v[72:73], v[42:43], -v[32:33]
	v_add_f64_e32 v[114:115], v[114:115], v[116:117]
	v_add_f64_e64 v[116:117], v[142:143], -v[136:137]
	v_add_f64_e32 v[108:109], v[108:109], v[112:113]
	v_add_f64_e64 v[112:113], v[134:135], -v[120:121]
	v_add_f64_e32 v[118:119], v[118:119], v[162:163]
	v_add_f64_e64 v[162:163], v[138:139], -v[140:141]
	v_add_f64_e32 v[170:171], v[170:171], v[172:173]
	v_add_f64_e64 v[172:173], v[122:123], -v[132:133]
	v_add_f64_e32 v[176:177], v[176:177], v[178:179]
	v_add_f64_e32 v[178:179], v[104:105], v[74:75]
	v_add_f64_e32 v[180:181], v[180:181], v[182:183]
	;; [unrolled: 1-line block ×15, first 2 shown]
	v_add_f64_e64 v[146:147], v[146:147], -v[150:151]
	v_add_f64_e32 v[96:97], v[96:97], v[100:101]
	v_add_f64_e32 v[100:101], v[106:107], v[26:27]
	;; [unrolled: 1-line block ×3, first 2 shown]
	v_add_f64_e64 v[228:229], v[140:141], -v[138:139]
	v_add_f64_e32 v[230:231], v[230:231], v[232:233]
	v_add_f64_e64 v[232:233], v[132:133], -v[122:123]
	v_add_f64_e32 v[234:235], v[234:235], v[236:237]
	v_add_f64_e64 v[236:237], v[62:63], -v[24:25]
	v_add_f64_e64 v[144:145], v[144:145], -v[148:149]
	v_add_f64_e32 v[164:165], v[24:25], v[28:29]
	v_add_f64_e32 v[166:167], v[62:63], v[44:45]
	;; [unrolled: 1-line block ×4, first 2 shown]
	v_add_f64_e64 v[72:73], v[44:45], -v[28:29]
	v_add_f64_e64 v[142:143], v[142:143], -v[134:135]
	v_add_f64_e64 v[136:137], v[136:137], -v[120:121]
	v_add_f64_e32 v[112:113], v[116:117], v[112:113]
	v_add_f64_e32 v[116:117], v[2:3], v[160:161]
	v_add_f64_e64 v[160:161], v[160:161], -v[34:35]
	v_add_f64_e64 v[138:139], v[138:139], -v[122:123]
	v_add_f64_e32 v[162:163], v[162:163], v[172:173]
	v_add_f64_e32 v[172:173], v[52:53], v[36:37]
	v_fma_f64 v[178:179], v[178:179], -0.5, v[2:3]
	v_add_f64_e32 v[195:196], v[195:196], v[140:141]
	v_fma_f64 v[2:3], v[182:183], -0.5, v[2:3]
	;; [unrolled: 2-line block ×3, first 2 shown]
	v_add_f64_e64 v[140:141], v[140:141], -v[132:133]
	v_fma_f64 v[238:239], v[238:239], -0.5, v[158:159]
	v_add_f64_e64 v[124:125], v[124:125], -v[128:129]
	v_fma_f64 v[240:241], v[240:241], -0.5, v[56:57]
	;; [unrolled: 2-line block ×3, first 2 shown]
	v_add_f64_e32 v[156:157], v[156:157], v[12:13]
	v_add_f64_e32 v[102:103], v[102:103], v[150:151]
	v_fma_f64 v[191:192], v[191:192], -0.5, v[158:159]
	v_add_f64_e32 v[158:159], v[158:159], v[14:15]
	v_add_f64_e32 v[150:151], v[48:49], v[32:33]
	v_add_f64_e64 v[12:13], v[12:13], -v[16:17]
	v_fma_f64 v[100:101], v[100:101], -0.5, v[56:57]
	v_add_f64_e32 v[56:57], v[56:57], v[106:107]
	v_add_f64_e64 v[106:107], v[106:107], -v[26:27]
	v_add_f64_e32 v[148:149], v[168:169], v[148:149]
	v_add_f64_e32 v[228:229], v[228:229], v[232:233]
	v_add_f64_e64 v[232:233], v[24:25], -v[62:63]
	v_add_f64_e64 v[14:15], v[14:15], -v[18:19]
	;; [unrolled: 1-line block ×3, first 2 shown]
	v_fma_f64 v[164:165], v[164:165], -0.5, v[76:77]
	v_fma_f64 v[166:167], v[166:167], -0.5, v[76:77]
	v_add_f64_e32 v[76:77], v[76:77], v[62:63]
	v_add_f64_e64 v[62:63], v[62:63], -v[44:45]
	v_add_f64_e32 v[72:73], v[236:237], v[72:73]
	v_add_f64_e64 v[236:237], v[28:29], -v[44:45]
	v_add_f64_e32 v[134:135], v[193:194], v[134:135]
	v_add_nc_u32_e32 v242, 0x400, v111
	v_add_f64_e32 v[116:117], v[116:117], v[104:105]
	v_add_f64_e64 v[104:105], v[104:105], -v[74:75]
	global_wb scope:SCOPE_SE
	s_barrier_signal -1
	v_fma_f64 v[172:173], v[172:173], -0.5, v[154:155]
	s_barrier_wait -1
	v_add_f64_e32 v[132:133], v[195:196], v[132:133]
	global_inv scope:SCOPE_SE
	v_fma_f64 v[182:183], v[182:183], -0.5, v[154:155]
	v_add_f64_e32 v[154:155], v[154:155], v[68:69]
	v_add_f64_e64 v[68:69], v[68:69], -v[40:41]
	v_add_nc_u32_e32 v243, 0x400, v110
	v_fma_f64 v[168:169], v[160:161], s[0:1], v[240:241]
	v_fma_f64 v[240:241], v[160:161], s[18:19], v[240:241]
	v_add_f64_e32 v[156:157], v[156:157], v[8:9]
	v_add_f64_e64 v[8:9], v[8:9], -v[20:21]
	v_add_f64_e32 v[158:159], v[158:159], v[10:11]
	v_add_f64_e64 v[10:11], v[10:11], -v[22:23]
	v_fma_f64 v[150:151], v[150:151], -0.5, v[152:153]
	v_add_f64_e32 v[56:57], v[56:57], v[54:55]
	v_add_f64_e64 v[54:55], v[54:55], -v[46:47]
	v_add_f64_e32 v[76:77], v[76:77], v[24:25]
	v_add_f64_e64 v[24:25], v[24:25], -v[28:29]
	v_add_f64_e32 v[232:233], v[232:233], v[236:237]
	v_add_f64_e32 v[236:237], v[60:61], v[42:43]
	;; [unrolled: 1-line block ×3, first 2 shown]
	v_fma_f64 v[116:117], v[104:105], s[18:19], v[100:101]
	v_fma_f64 v[100:101], v[104:105], s[0:1], v[100:101]
	v_add_f64_e32 v[154:155], v[154:155], v[52:53]
	v_add_f64_e64 v[52:53], v[52:53], -v[36:37]
	v_fma_f64 v[168:169], v[104:105], s[12:13], v[168:169]
	v_fma_f64 v[104:105], v[104:105], s[16:17], v[240:241]
	v_add_f64_e32 v[20:21], v[156:157], v[20:21]
	v_fma_f64 v[156:157], v[8:9], s[18:19], v[182:183]
	v_fma_f64 v[182:183], v[8:9], s[0:1], v[182:183]
	v_add_f64_e32 v[22:23], v[158:159], v[22:23]
	v_add_f64_e32 v[46:47], v[56:57], v[46:47]
	v_fma_f64 v[158:159], v[54:55], s[0:1], v[2:3]
	v_fma_f64 v[2:3], v[54:55], s[18:19], v[2:3]
	;; [unrolled: 1-line block ×4, first 2 shown]
	v_add_f64_e32 v[28:29], v[76:77], v[28:29]
	v_fma_f64 v[76:77], v[124:125], s[18:19], v[82:83]
	v_fma_f64 v[236:237], v[236:237], -0.5, v[152:153]
	v_add_f64_e32 v[152:153], v[152:153], v[60:61]
	v_add_f64_e64 v[60:61], v[60:61], -v[42:43]
	v_fma_f64 v[116:117], v[160:161], s[12:13], v[116:117]
	v_fma_f64 v[100:101], v[160:161], s[16:17], v[100:101]
	;; [unrolled: 1-line block ×4, first 2 shown]
	v_add_f64_e32 v[34:35], v[74:75], v[34:35]
	v_add_f64_e32 v[74:75], v[148:149], v[130:131]
	;; [unrolled: 1-line block ×3, first 2 shown]
	v_fma_f64 v[240:241], v[52:53], s[0:1], v[224:225]
	v_fma_f64 v[224:225], v[52:53], s[18:19], v[224:225]
	;; [unrolled: 1-line block ×4, first 2 shown]
	v_add_f64_e32 v[16:17], v[20:21], v[16:17]
	v_fma_f64 v[156:157], v[12:13], s[12:13], v[156:157]
	v_fma_f64 v[12:13], v[12:13], s[16:17], v[182:183]
	;; [unrolled: 1-line block ×4, first 2 shown]
	v_add_f64_e32 v[18:19], v[22:23], v[18:19]
	v_add_f64_e32 v[26:27], v[46:47], v[26:27]
	v_fma_f64 v[158:159], v[106:107], s[16:17], v[158:159]
	v_fma_f64 v[2:3], v[106:107], s[12:13], v[2:3]
	;; [unrolled: 1-line block ×6, first 2 shown]
	v_add_f64_e32 v[46:47], v[134:135], v[120:121]
	v_add_f64_e32 v[28:29], v[28:29], v[44:45]
	v_fma_f64 v[76:77], v[146:147], s[16:17], v[76:77]
	v_fma_f64 v[172:173], v[10:11], s[18:19], v[236:237]
	v_add_f64_e32 v[152:153], v[152:153], v[48:49]
	v_add_f64_e64 v[48:49], v[48:49], -v[32:33]
	v_fma_f64 v[236:237], v[10:11], s[0:1], v[236:237]
	v_fma_f64 v[116:117], v[118:119], s[14:15], v[116:117]
	;; [unrolled: 1-line block ×14, first 2 shown]
	v_add_f64_e32 v[36:37], v[36:37], v[40:41]
	v_fma_f64 v[156:157], v[226:227], s[14:15], v[156:157]
	v_fma_f64 v[12:13], v[226:227], s[14:15], v[12:13]
	;; [unrolled: 1-line block ×12, first 2 shown]
	v_add_f64_e32 v[180:181], v[184:185], v[50:51]
	v_fma_f64 v[150:151], v[62:63], s[18:19], v[78:79]
	v_fma_f64 v[184:185], v[24:25], s[0:1], v[0:1]
	;; [unrolled: 1-line block ×4, first 2 shown]
	v_add_f64_e64 v[50:51], v[50:51], -v[38:39]
	v_fma_f64 v[172:173], v[14:15], s[12:13], v[172:173]
	v_add_f64_e32 v[32:33], v[152:153], v[32:33]
	v_fma_f64 v[226:227], v[48:49], s[0:1], v[191:192]
	v_fma_f64 v[186:187], v[48:49], s[18:19], v[191:192]
	;; [unrolled: 1-line block ×7, first 2 shown]
	v_mul_f64_e32 v[193:194], s[18:19], v[100:101]
	v_fma_f64 v[118:119], v[140:141], s[16:17], v[118:119]
	v_fma_f64 v[64:65], v[140:141], s[12:13], v[64:65]
	;; [unrolled: 1-line block ×3, first 2 shown]
	v_mul_f64_e32 v[160:161], s[16:17], v[168:169]
	v_fma_f64 v[136:137], v[142:143], s[16:17], v[224:225]
	v_fma_f64 v[104:105], v[48:49], s[16:17], v[104:105]
	;; [unrolled: 1-line block ×3, first 2 shown]
	v_mul_f64_e32 v[94:95], s[16:17], v[98:99]
	v_fma_f64 v[195:196], v[202:203], s[14:15], v[240:241]
	v_fma_f64 v[68:69], v[202:203], s[14:15], v[68:69]
	v_mul_f64_e32 v[224:225], s[18:19], v[12:13]
	v_fma_f64 v[182:183], v[176:177], s[14:15], v[182:183]
	v_fma_f64 v[52:53], v[176:177], s[14:15], v[52:53]
	;; [unrolled: 1-line block ×4, first 2 shown]
	v_mul_f64_e32 v[222:223], s[18:19], v[156:157]
	v_mul_f64_e32 v[100:101], s[22:23], v[100:101]
	;; [unrolled: 1-line block ×3, first 2 shown]
	v_fma_f64 v[106:107], v[66:67], s[14:15], v[106:107]
	v_mul_f64_e32 v[202:203], s[16:17], v[56:57]
	v_mul_f64_e32 v[176:177], s[16:17], v[8:9]
	v_fma_f64 v[10:11], v[66:67], s[14:15], v[10:11]
	v_add_f64_e32 v[38:39], v[180:181], v[38:39]
	v_fma_f64 v[66:67], v[124:125], s[0:1], v[82:83]
	v_fma_f64 v[82:83], v[146:147], s[18:19], v[84:85]
	v_fma_f64 v[84:85], v[146:147], s[0:1], v[84:85]
	v_fma_f64 v[20:21], v[62:63], s[16:17], v[184:185]
	v_fma_f64 v[0:1], v[62:63], s[12:13], v[0:1]
	v_fma_f64 v[108:109], v[92:93], s[14:15], v[172:173]
	v_mul_f64_e32 v[172:173], s[18:19], v[116:117]
	v_fma_f64 v[138:139], v[60:61], s[16:17], v[226:227]
	v_fma_f64 v[60:61], v[60:61], s[12:13], v[186:187]
	;; [unrolled: 1-line block ×4, first 2 shown]
	v_add_f64_e32 v[92:93], v[102:103], v[128:129]
	v_fma_f64 v[128:129], v[114:115], s[14:15], v[178:179]
	v_fma_f64 v[4:5], v[114:115], s[14:15], v[4:5]
	v_fma_f64 v[102:103], v[24:25], s[16:17], v[150:151]
	v_fma_f64 v[152:153], v[2:3], s[22:23], v[193:194]
	v_fma_f64 v[118:119], v[170:171], s[14:15], v[118:119]
	v_fma_f64 v[64:65], v[170:171], s[14:15], v[64:65]
	v_fma_f64 v[148:149], v[140:141], s[24:25], v[160:161]
	v_fma_f64 v[114:115], v[90:91], s[14:15], v[136:137]
	v_fma_f64 v[104:105], v[234:235], s[14:15], v[104:105]
	v_fma_f64 v[58:59], v[90:91], s[14:15], v[58:59]
	v_fma_f64 v[90:91], v[54:55], s[20:21], v[94:95]
	v_fma_f64 v[24:25], v[24:25], s[12:13], v[78:79]
	v_fma_f64 v[178:179], v[50:51], s[18:19], v[166:167]
	v_fma_f64 v[160:161], v[68:69], s[22:23], v[224:225]
	v_fma_f64 v[166:167], v[50:51], s[0:1], v[166:167]
	v_mul_f64_e32 v[116:117], s[14:15], v[116:117]
	v_fma_f64 v[94:95], v[220:221], s[14:15], v[142:143]
	v_fma_f64 v[6:7], v[220:221], s[14:15], v[6:7]
	;; [unrolled: 1-line block ×3, first 2 shown]
	v_mul_f64_e32 v[56:57], s[24:25], v[56:57]
	v_mul_f64_e32 v[156:157], s[14:15], v[156:157]
	;; [unrolled: 1-line block ×3, first 2 shown]
	v_fma_f64 v[142:143], v[182:183], s[24:25], v[202:203]
	v_fma_f64 v[170:171], v[52:53], s[20:21], v[176:177]
	v_mul_f64_e32 v[78:79], s[16:17], v[10:11]
	v_add_f64_e32 v[30:31], v[38:39], v[30:31]
	v_fma_f64 v[176:177], v[70:71], s[0:1], v[164:165]
	v_fma_f64 v[164:165], v[70:71], s[18:19], v[164:165]
	;; [unrolled: 1-line block ×3, first 2 shown]
	v_add_f64_e32 v[66:67], v[74:75], v[16:17]
	v_add_f64_e64 v[16:17], v[74:75], -v[16:17]
	v_fma_f64 v[82:83], v[124:125], s[12:13], v[82:83]
	v_fma_f64 v[150:151], v[158:159], s[14:15], v[172:173]
	;; [unrolled: 1-line block ×3, first 2 shown]
	v_mul_f64_e32 v[138:139], s[18:19], v[108:109]
	v_fma_f64 v[172:173], v[126:127], s[0:1], v[86:87]
	v_fma_f64 v[60:61], v[80:81], s[14:15], v[60:61]
	;; [unrolled: 1-line block ×3, first 2 shown]
	v_mul_f64_e32 v[62:63], s[18:19], v[14:15]
	v_fma_f64 v[48:49], v[234:235], s[14:15], v[48:49]
	v_fma_f64 v[86:87], v[144:145], s[18:19], v[88:89]
	;; [unrolled: 1-line block ×3, first 2 shown]
	v_add_f64_e32 v[38:39], v[92:93], v[34:35]
	v_add_f64_e64 v[34:35], v[92:93], -v[34:35]
	v_fma_f64 v[74:75], v[230:231], s[14:15], v[102:103]
	v_add_f64_e32 v[180:181], v[4:5], v[152:153]
	v_add_f64_e64 v[4:5], v[4:5], -v[152:153]
	v_fma_f64 v[84:85], v[124:125], s[16:17], v[84:85]
	v_fma_f64 v[0:1], v[189:190], s[14:15], v[0:1]
	;; [unrolled: 1-line block ×3, first 2 shown]
	v_mul_f64_e32 v[12:13], s[22:23], v[12:13]
	v_fma_f64 v[146:147], v[70:71], s[12:13], v[178:179]
	v_mul_f64_e32 v[8:9], s[20:21], v[8:9]
	v_mul_f64_e32 v[108:109], s[14:15], v[108:109]
	;; [unrolled: 1-line block ×3, first 2 shown]
	v_add_f64_e32 v[152:153], v[6:7], v[160:161]
	v_mul_f64_e32 v[10:11], s[20:21], v[10:11]
	v_mul_f64_e32 v[106:107], s[24:25], v[106:107]
	v_add_f64_e64 v[6:7], v[6:7], -v[160:161]
	v_fma_f64 v[92:93], v[104:105], s[24:25], v[136:137]
	v_add_f64_e32 v[136:137], v[114:115], v[148:149]
	v_add_f64_e64 v[114:115], v[114:115], -v[148:149]
	v_add_f64_e32 v[148:149], v[58:59], v[90:91]
	v_add_f64_e64 v[58:59], v[58:59], -v[90:91]
	;; [unrolled: 2-line block ×4, first 2 shown]
	v_fma_f64 v[22:23], v[96:97], s[14:15], v[22:23]
	v_fma_f64 v[20:21], v[189:190], s[14:15], v[20:21]
	;; [unrolled: 1-line block ×5, first 2 shown]
	v_add_f64_e32 v[138:139], v[128:129], v[150:151]
	v_add_f64_e64 v[128:129], v[128:129], -v[150:151]
	v_add_f64_e32 v[150:151], v[94:95], v[154:155]
	v_add_f64_e64 v[94:95], v[94:95], -v[154:155]
	v_fma_f64 v[124:125], v[144:145], s[12:13], v[172:173]
	v_fma_f64 v[80:81], v[144:145], s[16:17], v[80:81]
	v_mul_f64_e32 v[144:145], s[24:25], v[168:169]
	v_fma_f64 v[62:63], v[60:61], s[22:23], v[62:63]
	v_fma_f64 v[78:79], v[48:49], s[20:21], v[78:79]
	;; [unrolled: 1-line block ×4, first 2 shown]
	ds_store_2addr_b64 v111, v[38:39], v[136:137] offset1:30
	ds_store_2addr_b64 v111, v[138:139], v[180:181] offset0:60 offset1:90
	ds_store_2addr_b64 v111, v[148:149], v[34:35] offset0:120 offset1:150
	;; [unrolled: 1-line block ×4, first 2 shown]
	ds_store_2addr_b64 v110, v[66:67], v[90:91] offset1:30
	ds_store_2addr_b64 v110, v[150:151], v[152:153] offset0:60 offset1:90
	ds_store_2addr_b64 v110, v[142:143], v[16:17] offset0:120 offset1:150
	;; [unrolled: 1-line block ×3, first 2 shown]
	v_fma_f64 v[4:5], v[70:71], s[16:17], v[166:167]
	v_fma_f64 v[126:127], v[50:51], s[12:13], v[176:177]
	;; [unrolled: 1-line block ×7, first 2 shown]
	v_add_f64_e32 v[16:17], v[0:1], v[62:63]
	v_add_f64_e64 v[0:1], v[0:1], -v[62:63]
	v_fma_f64 v[62:63], v[112:113], s[14:15], v[82:83]
	v_add_f64_e32 v[160:161], v[74:75], v[92:93]
	v_add_f64_e64 v[34:35], v[74:75], -v[92:93]
	v_add_f64_e32 v[74:75], v[132:133], v[122:123]
	v_fma_f64 v[76:77], v[162:163], s[14:15], v[124:125]
	v_fma_f64 v[56:57], v[182:183], s[12:13], v[56:57]
	v_add_f64_e32 v[154:155], v[30:31], v[18:19]
	v_add_f64_e64 v[18:19], v[30:31], -v[18:19]
	v_add_f64_e32 v[30:31], v[24:25], v[78:79]
	v_add_f64_e64 v[24:25], v[24:25], -v[78:79]
	v_fma_f64 v[40:41], v[162:163], s[14:15], v[80:81]
	v_fma_f64 v[78:79], v[228:229], s[14:15], v[86:87]
	;; [unrolled: 1-line block ×9, first 2 shown]
	v_add_f64_e32 v[32:33], v[32:33], v[42:43]
	v_fma_f64 v[10:11], v[48:49], s[12:13], v[10:11]
	ds_store_2addr_b64 v243, v[6:7], v[64:65] offset0:112 offset1:142
	v_add_f64_e32 v[60:61], v[46:47], v[26:27]
	v_add_f64_e32 v[164:165], v[20:21], v[102:103]
	v_add_f64_e64 v[20:21], v[20:21], -v[102:103]
	v_add3_u32 v128, 0, v197, v188
	v_dual_mov_b32 v203, 0 :: v_dual_lshlrev_b32 v202, 1, v204
	v_add_nc_u32_e32 v234, 0x1c00, v198
	v_fma_f64 v[4:5], v[232:233], s[14:15], v[4:5]
	v_fma_f64 v[44:45], v[72:73], s[14:15], v[126:127]
	;; [unrolled: 1-line block ×4, first 2 shown]
	v_add_f64_e64 v[72:73], v[46:47], -v[26:27]
	v_add_f64_e32 v[88:89], v[58:59], v[54:55]
	v_add_f64_e32 v[64:65], v[22:23], v[38:39]
	v_add_f64_e64 v[84:85], v[22:23], -v[38:39]
	v_add_f64_e64 v[90:91], v[58:59], -v[54:55]
	v_add_f64_e32 v[86:87], v[62:63], v[66:67]
	v_add_f64_e64 v[62:63], v[62:63], -v[66:67]
	v_add_f64_e32 v[66:67], v[70:71], v[2:3]
	;; [unrolled: 2-line block ×3, first 2 shown]
	v_add_f64_e32 v[94:95], v[76:77], v[56:57]
	v_add_f64_e64 v[74:75], v[74:75], -v[36:37]
	v_add_f64_e64 v[76:77], v[76:77], -v[56:57]
	v_add_nc_u32_e32 v122, 0x400, v128
	ds_store_2addr_b64 v128, v[154:155], v[160:161] offset1:30
	ds_store_2addr_b64 v128, v[164:165], v[16:17] offset0:60 offset1:90
	ds_store_2addr_b64 v128, v[30:31], v[18:19] offset0:120 offset1:150
	;; [unrolled: 1-line block ×4, first 2 shown]
	v_add_f64_e32 v[96:97], v[78:79], v[80:81]
	v_add_f64_e64 v[78:79], v[78:79], -v[80:81]
	v_add_f64_e32 v[80:81], v[82:83], v[12:13]
	v_add_f64_e32 v[98:99], v[40:41], v[8:9]
	;; [unrolled: 1-line block ×3, first 2 shown]
	v_add_f64_e64 v[104:105], v[28:29], -v[32:33]
	v_add_f64_e32 v[114:115], v[4:5], v[14:15]
	v_add_f64_e64 v[82:83], v[82:83], -v[12:13]
	v_add_f64_e32 v[116:117], v[42:43], v[10:11]
	v_add_f64_e64 v[100:101], v[40:41], -v[8:9]
	v_add_f64_e64 v[108:109], v[44:45], -v[50:51]
	v_add_f64_e64 v[68:69], v[52:53], -v[68:69]
	v_add_f64_e32 v[102:103], v[28:29], v[32:33]
	v_add_f64_e32 v[106:107], v[44:45], v[50:51]
	v_add_f64_e64 v[118:119], v[4:5], -v[14:15]
	v_add_f64_e64 v[120:121], v[42:43], -v[10:11]
	global_wb scope:SCOPE_SE
	s_wait_dscnt 0x0
	s_barrier_signal -1
	s_barrier_wait -1
	global_inv scope:SCOPE_SE
	ds_load_2addr_b64 v[16:19], v198 offset1:90
	ds_load_2addr_b64 v[56:59], v217 offset0:132 offset1:222
	ds_load_2addr_b64 v[52:55], v205 offset0:8 offset1:98
	;; [unrolled: 1-line block ×14, first 2 shown]
	global_wb scope:SCOPE_SE
	s_wait_dscnt 0x0
	s_barrier_signal -1
	s_barrier_wait -1
	global_inv scope:SCOPE_SE
	ds_store_2addr_b64 v111, v[60:61], v[64:65] offset1:30
	ds_store_2addr_b64 v111, v[86:87], v[66:67] offset0:60 offset1:90
	ds_store_2addr_b64 v111, v[88:89], v[72:73] offset0:120 offset1:150
	ds_store_2addr_b64 v111, v[84:85], v[62:63] offset0:180 offset1:210
	ds_store_2addr_b64 v242, v[70:71], v[90:91] offset0:112 offset1:142
	ds_store_2addr_b64 v110, v[92:93], v[94:95] offset1:30
	ds_store_2addr_b64 v110, v[96:97], v[80:81] offset0:60 offset1:90
	v_lshlrev_b64_e32 v[60:61], 4, v[202:203]
	v_dual_mov_b32 v63, v203 :: v_dual_lshlrev_b32 v62, 1, v218
	v_add_nc_u32_e32 v90, 0x10e, v204
	v_subrev_nc_u32_e32 v64, 30, v204
	ds_store_2addr_b64 v110, v[98:99], v[74:75] offset0:120 offset1:150
	ds_store_2addr_b64 v110, v[76:77], v[78:79] offset0:180 offset1:210
	;; [unrolled: 1-line block ×3, first 2 shown]
	ds_store_2addr_b64 v128, v[102:103], v[106:107] offset1:30
	v_add_co_u32 v84, s0, s8, v60
	s_wait_alu 0xf1ff
	v_add_co_ci_u32_e64 v85, s0, s9, v61, s0
	v_lshlrev_b64_e32 v[60:61], 4, v[62:63]
	v_cmp_gt_u32_e64 s0, 30, v204
	v_lshlrev_b32_e32 v62, 1, v219
	ds_store_2addr_b64 v128, v[112:113], v[114:115] offset0:60 offset1:90
	ds_store_2addr_b64 v128, v[116:117], v[104:105] offset0:120 offset1:150
	;; [unrolled: 1-line block ×4, first 2 shown]
	global_wb scope:SCOPE_SE
	s_wait_dscnt 0x0
	s_barrier_signal -1
	s_wait_alu 0xf1ff
	v_cndmask_b32_e64 v95, v64, v90, s0
	v_add_co_u32 v88, s0, s8, v60
	s_wait_alu 0xf1ff
	v_add_co_ci_u32_e64 v89, s0, s9, v61, s0
	s_barrier_wait -1
	global_inv scope:SCOPE_SE
	v_lshlrev_b64_e32 v[76:77], 4, v[62:63]
	s_clause 0x3
	global_load_b128 v[72:75], v[84:85], off offset:4752
	global_load_b128 v[64:67], v[84:85], off offset:4768
	;; [unrolled: 1-line block ×4, first 2 shown]
	v_dual_mov_b32 v79, v203 :: v_dual_lshlrev_b32 v78, 1, v95
	v_add_nc_u32_e32 v91, 0x21c, v204
	v_add_nc_u32_e32 v92, 0x276, v204
	v_add_co_u32 v86, s0, s8, v76
	s_delay_alu instid0(VALU_DEP_4) | instskip(SKIP_4) | instid1(VALU_DEP_4)
	v_lshlrev_b64_e32 v[78:79], 4, v[78:79]
	s_wait_alu 0xf1ff
	v_add_co_ci_u32_e64 v87, s0, s9, v77, s0
	v_dual_mov_b32 v77, v203 :: v_dual_add_nc_u32 v76, 0x78, v202
	v_lshrrev_b16 v93, 2, v91
	v_add_co_u32 v100, s0, s8, v78
	v_lshrrev_b16 v98, 2, v92
	s_delay_alu instid0(VALU_DEP_4) | instskip(NEXT) | instid1(VALU_DEP_4)
	v_lshlrev_b64_e32 v[96:97], 4, v[76:77]
	v_and_b32_e32 v94, 0xffff, v93
	s_wait_alu 0xf1ff
	v_add_co_ci_u32_e64 v101, s0, s9, v79, s0
	v_add_nc_u32_e32 v93, 0x2d0, v204
	v_and_b32_e32 v107, 0xffff, v98
	v_add_co_u32 v108, s0, s8, v96
	v_mul_u32_u24_e32 v106, 0x6d3b, v94
	v_add_nc_u32_e32 v94, 0x32a, v204
	s_clause 0x1
	global_load_b128 v[80:83], v[86:87], off offset:4752
	global_load_b128 v[76:79], v[86:87], off offset:4768
	s_wait_alu 0xf1ff
	v_add_co_ci_u32_e64 v109, s0, s9, v97, s0
	global_load_b128 v[96:99], v[100:101], off offset:4752
	v_dual_mov_b32 v103, v203 :: v_dual_add_nc_u32 v102, 0x12c, v202
	v_lshrrev_b16 v110, 2, v93
	v_lshrrev_b32_e32 v180, 21, v106
	v_mul_u32_u24_e32 v106, 0x6d3b, v107
	v_lshrrev_b16 v107, 2, v94
	v_lshlrev_b64_e32 v[104:105], 4, v[102:103]
	global_load_b128 v[100:103], v[100:101], off offset:4768
	v_and_b32_e32 v110, 0xffff, v110
	v_lshrrev_b32_e32 v106, 21, v106
	v_and_b32_e32 v107, 0xffff, v107
	v_mul_lo_u16 v111, 0x12c, v180
	v_add_co_u32 v116, s0, s8, v104
	v_mul_u32_u24_e32 v110, 0x6d3b, v110
	s_delay_alu instid0(VALU_DEP_4)
	v_mul_u32_u24_e32 v114, 0x6d3b, v107
	v_mul_lo_u16 v113, 0x12c, v106
	v_sub_nc_u16 v112, v91, v111
	s_wait_alu 0xf1ff
	v_add_co_ci_u32_e64 v117, s0, s9, v105, s0
	v_lshrrev_b32_e32 v115, 21, v110
	v_lshrrev_b32_e32 v121, 21, v114
	v_sub_nc_u16 v120, v92, v113
	v_and_b32_e32 v220, 0xffff, v112
	s_clause 0x1
	global_load_b128 v[104:107], v[108:109], off offset:4752
	global_load_b128 v[108:111], v[108:109], off offset:4768
	v_mul_lo_u16 v122, 0x12c, v115
	v_mul_lo_u16 v124, 0x12c, v121
	v_and_b32_e32 v221, 0xffff, v120
	v_lshlrev_b32_e32 v128, 5, v220
	s_clause 0x1
	global_load_b128 v[112:115], v[116:117], off offset:4752
	global_load_b128 v[116:119], v[116:117], off offset:4768
	v_sub_nc_u16 v125, v93, v122
	v_sub_nc_u16 v133, v94, v124
	v_lshlrev_b32_e32 v132, 5, v221
	global_load_b128 v[120:123], v128, s[8:9] offset:4752
	v_mul_u32_u24_e32 v226, 0x1c20, v180
	v_and_b32_e32 v222, 0xffff, v125
	v_and_b32_e32 v223, 0xffff, v133
	s_clause 0x2
	global_load_b128 v[124:127], v132, s[8:9] offset:4752
	global_load_b128 v[128:131], v128, s[8:9] offset:4768
	;; [unrolled: 1-line block ×3, first 2 shown]
	v_lshlrev_b32_e32 v225, 3, v95
	v_lshlrev_b32_e32 v144, 5, v222
	;; [unrolled: 1-line block ×3, first 2 shown]
	s_clause 0x3
	global_load_b128 v[136:139], v144, s[8:9] offset:4752
	global_load_b128 v[140:143], v148, s[8:9] offset:4752
	;; [unrolled: 1-line block ×4, first 2 shown]
	ds_load_2addr_b64 v[152:155], v217 offset0:132 offset1:222
	ds_load_2addr_b64 v[156:159], v205 offset0:8 offset1:98
	;; [unrolled: 1-line block ×7, first 2 shown]
	v_lshl_add_u32 v236, v221, 3, 0
	v_lshl_add_u32 v237, v222, 3, 0
	;; [unrolled: 1-line block ×3, first 2 shown]
	v_cmp_lt_u32_e64 s0, 29, v204
	s_wait_alu 0xf1ff
	s_delay_alu instid0(VALU_DEP_1) | instskip(NEXT) | instid1(VALU_DEP_1)
	v_cndmask_b32_e64 v224, 0, 0x1c20, s0
	v_add3_u32 v235, 0, v224, v225
	s_wait_loadcnt_dscnt 0x1306
	v_mul_f64_e32 v[172:173], v[152:153], v[74:75]
	v_mul_f64_e32 v[74:75], v[56:57], v[74:75]
	s_wait_loadcnt 0x11
	v_mul_f64_e32 v[184:185], v[154:155], v[70:71]
	v_mul_f64_e32 v[70:71], v[58:59], v[70:71]
	s_wait_dscnt 0x5
	v_mul_f64_e32 v[186:187], v[156:157], v[66:67]
	v_mul_f64_e32 v[188:189], v[52:53], v[66:67]
	s_wait_loadcnt 0x10
	v_mul_f64_e32 v[190:191], v[158:159], v[62:63]
	v_mul_f64_e32 v[62:63], v[54:55], v[62:63]
	s_wait_loadcnt_dscnt 0xf04
	v_mul_f64_e32 v[192:193], v[160:161], v[82:83]
	v_mul_f64_e32 v[82:83], v[48:49], v[82:83]
	s_wait_loadcnt_dscnt 0xe03
	v_mul_f64_e32 v[196:197], v[164:165], v[78:79]
	v_mul_f64_e32 v[78:79], v[44:45], v[78:79]
	s_wait_loadcnt 0xd
	v_mul_f64_e32 v[194:195], v[162:163], v[98:99]
	v_mul_f64_e32 v[98:99], v[50:51], v[98:99]
	v_fma_f64 v[172:173], v[56:57], v[72:73], v[172:173]
	v_fma_f64 v[74:75], v[152:153], v[72:73], -v[74:75]
	s_wait_loadcnt 0xc
	v_mul_f64_e32 v[218:219], v[166:167], v[102:103]
	v_mul_f64_e32 v[102:103], v[46:47], v[102:103]
	v_fma_f64 v[152:153], v[58:59], v[68:69], v[184:185]
	ds_load_2addr_b64 v[56:59], v211 offset0:36 offset1:126
	v_fma_f64 v[154:155], v[154:155], v[68:69], -v[70:71]
	ds_load_2addr_b64 v[66:69], v212 offset0:84 offset1:174
	ds_load_2addr_b64 v[70:73], v216 offset0:88 offset1:178
	v_fma_f64 v[186:187], v[52:53], v[64:65], v[186:187]
	v_fma_f64 v[64:65], v[156:157], v[64:65], -v[188:189]
	v_fma_f64 v[156:157], v[54:55], v[60:61], v[190:191]
	v_fma_f64 v[60:61], v[158:159], v[60:61], -v[62:63]
	s_wait_loadcnt_dscnt 0xb05
	v_mul_f64_e32 v[184:185], v[168:169], v[106:107]
	v_mul_f64_e32 v[52:53], v[40:41], v[106:107]
	s_wait_loadcnt_dscnt 0xa04
	v_mul_f64_e32 v[54:55], v[176:177], v[110:111]
	v_mul_f64_e32 v[110:111], v[36:37], v[110:111]
	s_wait_loadcnt 0x9
	v_mul_f64_e32 v[106:107], v[170:171], v[114:115]
	s_wait_loadcnt 0x8
	v_mul_f64_e32 v[188:189], v[178:179], v[118:119]
	v_mul_f64_e32 v[62:63], v[42:43], v[114:115]
	;; [unrolled: 1-line block ×3, first 2 shown]
	s_wait_loadcnt_dscnt 0x703
	v_mul_f64_e32 v[118:119], v[180:181], v[122:123]
	v_fma_f64 v[158:159], v[48:49], v[80:81], v[192:193]
	v_fma_f64 v[80:81], v[160:161], v[80:81], -v[82:83]
	v_mul_f64_e32 v[82:83], v[32:33], v[122:123]
	s_wait_loadcnt_dscnt 0x502
	v_mul_f64_e32 v[190:191], v[56:57], v[130:131]
	v_mul_f64_e32 v[122:123], v[182:183], v[126:127]
	v_fma_f64 v[160:161], v[50:51], v[96:97], v[194:195]
	v_fma_f64 v[95:96], v[162:163], v[96:97], -v[98:99]
	v_mul_f64_e32 v[97:98], v[28:29], v[130:131]
	s_wait_loadcnt 0x4
	v_mul_f64_e32 v[130:131], v[58:59], v[134:135]
	s_wait_loadcnt_dscnt 0x301
	v_mul_f64_e32 v[162:163], v[66:67], v[138:139]
	s_wait_loadcnt_dscnt 0x100
	v_mul_f64_e32 v[194:195], v[70:71], v[146:147]
	v_fma_f64 v[192:193], v[44:45], v[76:77], v[196:197]
	v_fma_f64 v[76:77], v[164:165], v[76:77], -v[78:79]
	v_mul_f64_e32 v[78:79], v[24:25], v[138:139]
	v_mul_f64_e32 v[138:139], v[68:69], v[142:143]
	v_fma_f64 v[164:165], v[46:47], v[100:101], v[218:219]
	v_fma_f64 v[99:100], v[166:167], v[100:101], -v[102:103]
	s_wait_loadcnt 0x0
	v_mul_f64_e32 v[101:102], v[72:73], v[150:151]
	v_mul_f64_e32 v[126:127], v[34:35], v[126:127]
	;; [unrolled: 1-line block ×6, first 2 shown]
	v_lshlrev_b32_e32 v44, 3, v220
	v_fma_f64 v[166:167], v[40:41], v[104:105], v[184:185]
	v_fma_f64 v[103:104], v[168:169], v[104:105], -v[52:53]
	v_fma_f64 v[184:185], v[36:37], v[108:109], v[54:55]
	v_fma_f64 v[108:109], v[176:177], v[108:109], -v[110:111]
	v_add3_u32 v239, 0, v226, v44
	v_fma_f64 v[106:107], v[42:43], v[112:113], v[106:107]
	v_fma_f64 v[188:189], v[38:39], v[116:117], v[188:189]
	v_fma_f64 v[62:63], v[170:171], v[112:113], -v[62:63]
	v_fma_f64 v[110:111], v[178:179], v[116:117], -v[114:115]
	ds_load_2addr_b64 v[44:47], v198 offset1:90
	v_fma_f64 v[32:33], v[32:33], v[120:121], v[118:119]
	ds_load_2addr_b64 v[36:39], v199 offset0:52 offset1:142
	ds_load_2addr_b64 v[40:43], v214 offset0:104 offset1:194
	;; [unrolled: 1-line block ×3, first 2 shown]
	v_fma_f64 v[82:83], v[180:181], v[120:121], -v[82:83]
	v_fma_f64 v[28:29], v[28:29], v[128:129], v[190:191]
	v_fma_f64 v[34:35], v[34:35], v[124:125], v[122:123]
	ds_load_2addr_b64 v[52:55], v210 offset0:80 offset1:170
	v_add_f64_e32 v[114:115], v[154:155], v[60:61]
	v_fma_f64 v[56:57], v[56:57], v[128:129], -v[97:98]
	v_fma_f64 v[30:31], v[30:31], v[132:133], v[130:131]
	v_fma_f64 v[24:25], v[24:25], v[136:137], v[162:163]
	;; [unrolled: 1-line block ×3, first 2 shown]
	v_add_f64_e32 v[97:98], v[152:153], v[156:157]
	v_add_f64_e32 v[116:117], v[158:159], v[192:193]
	v_fma_f64 v[66:67], v[66:67], v[136:137], -v[78:79]
	v_fma_f64 v[26:27], v[26:27], v[140:141], v[138:139]
	v_add_f64_e32 v[78:79], v[172:173], v[186:187]
	v_add_f64_e32 v[118:119], v[160:161], v[164:165]
	v_fma_f64 v[22:23], v[22:23], v[148:149], v[101:102]
	v_fma_f64 v[112:113], v[182:183], v[124:125], -v[126:127]
	v_fma_f64 v[68:69], v[68:69], v[140:141], -v[142:143]
	;; [unrolled: 1-line block ×4, first 2 shown]
	v_add_f64_e32 v[128:129], v[16:17], v[172:173]
	v_add_f64_e32 v[130:131], v[18:19], v[152:153]
	v_fma_f64 v[58:59], v[58:59], v[132:133], -v[134:135]
	v_add_f64_e32 v[101:102], v[74:75], v[64:65]
	v_add_f64_e32 v[120:121], v[80:81], v[76:77]
	s_wait_dscnt 0x4
	v_add_f64_e32 v[132:133], v[44:45], v[74:75]
	v_add_f64_e64 v[74:75], v[74:75], -v[64:65]
	v_add_f64_e32 v[124:125], v[166:167], v[184:185]
	v_add_f64_e64 v[136:137], v[154:155], -v[60:61]
	v_add_f64_e32 v[138:139], v[12:13], v[158:159]
	s_wait_dscnt 0x3
	v_add_f64_e32 v[142:143], v[36:37], v[80:81]
	v_add_f64_e32 v[126:127], v[106:107], v[188:189]
	v_add_f64_e64 v[80:81], v[80:81], -v[76:77]
	v_add_f64_e32 v[140:141], v[14:15], v[160:161]
	v_add_f64_e32 v[122:123], v[95:96], v[99:100]
	v_add_f64_e32 v[144:145], v[38:39], v[95:96]
	v_add_f64_e64 v[95:96], v[95:96], -v[99:100]
	v_add_f64_e32 v[146:147], v[8:9], v[166:167]
	s_wait_dscnt 0x1
	v_add_f64_e32 v[194:195], v[48:49], v[82:83]
	v_add_f64_e32 v[170:171], v[32:33], v[28:29]
	v_add_f64_e32 v[148:149], v[10:11], v[106:107]
	v_add_f64_e32 v[134:135], v[46:47], v[154:155]
	v_add_f64_e32 v[150:151], v[103:104], v[108:109]
	v_add_f64_e32 v[154:155], v[62:63], v[110:111]
	v_add_f64_e32 v[176:177], v[34:35], v[30:31]
	v_add_f64_e32 v[162:163], v[40:41], v[103:104]
	v_add_f64_e32 v[196:197], v[24:25], v[20:21]
	v_fma_f64 v[18:19], v[97:98], -0.5, v[18:19]
	v_fma_f64 v[12:13], v[116:117], -0.5, v[12:13]
	v_add_f64_e32 v[168:169], v[42:43], v[62:63]
	v_add_f64_e64 v[103:104], v[103:104], -v[108:109]
	v_fma_f64 v[16:17], v[78:79], -0.5, v[16:17]
	v_fma_f64 v[14:15], v[118:119], -0.5, v[14:15]
	v_add_f64_e32 v[218:219], v[26:27], v[22:23]
	v_add_f64_e32 v[228:229], v[50:51], v[112:113]
	v_add_f64_e64 v[62:63], v[62:63], -v[110:111]
	v_add_f64_e32 v[220:221], v[66:67], v[70:71]
	v_add_f64_e32 v[222:223], v[68:69], v[72:73]
	v_add_f64_e32 v[78:79], v[128:129], v[186:187]
	v_add_f64_e32 v[128:129], v[130:131], v[156:157]
	v_add_f64_e32 v[178:179], v[4:5], v[32:33]
	v_add_f64_e32 v[182:183], v[82:83], v[56:57]
	v_add_f64_e64 v[82:83], v[82:83], -v[56:57]
	v_add_f64_e32 v[180:181], v[6:7], v[34:35]
	v_add_f64_e32 v[190:191], v[112:113], v[58:59]
	v_fma_f64 v[8:9], v[124:125], -0.5, v[8:9]
	v_add_f64_e64 v[112:113], v[112:113], -v[58:59]
	v_add_f64_e32 v[224:225], v[0:1], v[24:25]
	s_wait_dscnt 0x0
	v_add_f64_e32 v[230:231], v[52:53], v[66:67]
	v_fma_f64 v[10:11], v[126:127], -0.5, v[10:11]
	v_add_f64_e64 v[66:67], v[66:67], -v[70:71]
	v_add_f64_e32 v[226:227], v[2:3], v[26:27]
	v_add_f64_e32 v[232:233], v[54:55], v[68:69]
	v_add_f64_e64 v[68:69], v[68:69], -v[72:73]
	v_add_f64_e64 v[152:153], v[152:153], -v[156:157]
	;; [unrolled: 1-line block ×4, first 2 shown]
	v_fma_f64 v[4:5], v[170:171], -0.5, v[4:5]
	v_fma_f64 v[46:47], v[114:115], -0.5, v[46:47]
	;; [unrolled: 1-line block ×3, first 2 shown]
	v_add_f64_e32 v[118:119], v[194:195], v[56:57]
	v_add_f64_e32 v[97:98], v[138:139], v[192:193]
	v_fma_f64 v[6:7], v[176:177], -0.5, v[6:7]
	v_fma_f64 v[44:45], v[101:102], -0.5, v[44:45]
	;; [unrolled: 1-line block ×3, first 2 shown]
	v_add_f64_e32 v[101:102], v[140:141], v[164:165]
	global_wb scope:SCOPE_SE
	s_barrier_signal -1
	s_barrier_wait -1
	v_fma_f64 v[56:57], v[74:75], s[4:5], v[16:17]
	v_fma_f64 v[16:17], v[74:75], s[2:3], v[16:17]
	v_fma_f64 v[2:3], v[218:219], -0.5, v[2:3]
	v_add_f64_e32 v[120:121], v[228:229], v[58:59]
	v_fma_f64 v[58:59], v[136:137], s[4:5], v[18:19]
	v_fma_f64 v[52:53], v[220:221], -0.5, v[52:53]
	v_fma_f64 v[54:55], v[222:223], -0.5, v[54:55]
	v_fma_f64 v[18:19], v[136:137], s[2:3], v[18:19]
	v_fma_f64 v[74:75], v[80:81], s[2:3], v[12:13]
	;; [unrolled: 1-line block ×3, first 2 shown]
	global_inv scope:SCOPE_SE
	ds_store_2addr_b64 v198, v[78:79], v[128:129] offset1:90
	v_fma_f64 v[78:79], v[95:96], s[2:3], v[14:15]
	v_fma_f64 v[14:15], v[95:96], s[4:5], v[14:15]
	v_add_f64_e32 v[114:115], v[146:147], v[184:185]
	v_add_f64_e32 v[116:117], v[148:149], v[188:189]
	v_fma_f64 v[80:81], v[103:104], s[2:3], v[8:9]
	v_fma_f64 v[8:9], v[103:104], s[4:5], v[8:9]
	;; [unrolled: 1-line block ×4, first 2 shown]
	v_add_f64_e64 v[172:173], v[172:173], -v[186:187]
	v_add_f64_e64 v[32:33], v[32:33], -v[28:29]
	v_add_f64_e32 v[28:29], v[178:179], v[28:29]
	v_add_f64_e64 v[158:159], v[158:159], -v[192:193]
	v_add_f64_e64 v[34:35], v[34:35], -v[30:31]
	v_add_f64_e32 v[30:31], v[180:181], v[30:31]
	v_fma_f64 v[62:63], v[82:83], s[2:3], v[4:5]
	v_fma_f64 v[4:5], v[82:83], s[4:5], v[4:5]
	v_add_f64_e64 v[160:161], v[160:161], -v[164:165]
	v_fma_f64 v[38:39], v[122:123], -0.5, v[38:39]
	v_add_f64_e32 v[20:21], v[224:225], v[20:21]
	v_fma_f64 v[82:83], v[112:113], s[2:3], v[6:7]
	v_fma_f64 v[6:7], v[112:113], s[4:5], v[6:7]
	;; [unrolled: 1-line block ×3, first 2 shown]
	v_add_f64_e64 v[166:167], v[166:167], -v[184:185]
	v_add_f64_e64 v[105:106], v[106:107], -v[188:189]
	v_fma_f64 v[40:41], v[150:151], -0.5, v[40:41]
	v_fma_f64 v[42:43], v[154:155], -0.5, v[42:43]
	v_fma_f64 v[0:1], v[66:67], s[4:5], v[0:1]
	v_add_f64_e32 v[22:23], v[226:227], v[22:23]
	v_fma_f64 v[66:67], v[68:69], s[2:3], v[2:3]
	v_fma_f64 v[48:49], v[182:183], -0.5, v[48:49]
	v_fma_f64 v[50:51], v[190:191], -0.5, v[50:51]
	v_fma_f64 v[2:3], v[68:69], s[4:5], v[2:3]
	v_add_f64_e32 v[107:108], v[162:163], v[108:109]
	v_add_f64_e32 v[109:110], v[168:169], v[110:111]
	v_fma_f64 v[111:112], v[152:153], s[2:3], v[46:47]
	v_fma_f64 v[124:125], v[152:153], s[4:5], v[46:47]
	;; [unrolled: 1-line block ×6, first 2 shown]
	ds_store_2addr_b64 v208, v[56:57], v[58:59] offset0:88 offset1:178
	ds_store_2addr_b64 v199, v[97:98], v[16:17] offset0:52 offset1:172
	;; [unrolled: 1-line block ×3, first 2 shown]
	ds_store_b64 v198, v[12:13] offset:6240
	ds_store_b64 v235, v[101:102]
	ds_store_b64 v235, v[78:79] offset:2400
	ds_store_b64 v235, v[14:15] offset:4800
	ds_store_2addr_b64 v234, v[114:115], v[116:117] offset0:64 offset1:154
	ds_store_2addr_b64 v207, v[80:81], v[95:96] offset0:108 offset1:198
	;; [unrolled: 1-line block ×3, first 2 shown]
	ds_store_b64 v239, v[28:29]
	ds_store_b64 v239, v[62:63] offset:2400
	ds_store_b64 v239, v[4:5] offset:4800
	;; [unrolled: 1-line block ×11, first 2 shown]
	global_wb scope:SCOPE_SE
	s_wait_dscnt 0x0
	s_barrier_signal -1
	s_barrier_wait -1
	global_inv scope:SCOPE_SE
	ds_load_2addr_b64 v[8:11], v198 offset1:90
	ds_load_2addr_b64 v[56:59], v217 offset0:132 offset1:222
	ds_load_2addr_b64 v[52:55], v205 offset0:8 offset1:98
	;; [unrolled: 1-line block ×6, first 2 shown]
	v_add_f64_e32 v[64:65], v[132:133], v[64:65]
	v_add_f64_e32 v[60:61], v[134:135], v[60:61]
	v_fma_f64 v[68:69], v[172:173], s[2:3], v[44:45]
	v_add_f64_e32 v[76:77], v[142:143], v[76:77]
	v_fma_f64 v[122:123], v[172:173], s[4:5], v[44:45]
	v_fma_f64 v[126:127], v[158:159], s[4:5], v[36:37]
	;; [unrolled: 1-line block ×3, first 2 shown]
	v_add_f64_e32 v[99:100], v[144:145], v[99:100]
	v_fma_f64 v[130:131], v[160:161], s[4:5], v[38:39]
	v_fma_f64 v[132:133], v[160:161], s[2:3], v[38:39]
	;; [unrolled: 1-line block ×10, first 2 shown]
	v_add_f64_e32 v[70:71], v[230:231], v[70:71]
	s_wait_dscnt 0x0
	scratch_store_b128 off, v[4:7], off     ; 16-byte Folded Spill
	ds_load_2addr_b64 v[28:31], v207 offset0:108 offset1:198
	ds_load_2addr_b64 v[32:35], v209 offset0:112 offset1:202
	;; [unrolled: 1-line block ×8, first 2 shown]
	v_add_f64_e32 v[72:73], v[232:233], v[72:73]
	global_wb scope:SCOPE_SE
	s_wait_storecnt_dscnt 0x0
	s_barrier_signal -1
	s_barrier_wait -1
	global_inv scope:SCOPE_SE
	ds_store_2addr_b64 v198, v[64:65], v[60:61] offset1:90
	ds_store_2addr_b64 v208, v[68:69], v[111:112] offset0:88 offset1:178
	ds_store_2addr_b64 v199, v[76:77], v[122:123] offset0:52 offset1:172
	;; [unrolled: 1-line block ×3, first 2 shown]
	ds_store_b64 v198, v[128:129] offset:6240
	ds_store_b64 v235, v[99:100]
	ds_store_b64 v235, v[130:131] offset:2400
	ds_store_b64 v235, v[132:133] offset:4800
	ds_store_2addr_b64 v234, v[107:108], v[109:110] offset0:64 offset1:154
	ds_store_2addr_b64 v207, v[134:135], v[138:139] offset0:108 offset1:198
	;; [unrolled: 1-line block ×3, first 2 shown]
	ds_store_b64 v239, v[118:119]
	ds_store_b64 v239, v[140:141] offset:2400
	ds_store_b64 v239, v[142:143] offset:4800
	;; [unrolled: 1-line block ×11, first 2 shown]
	global_wb scope:SCOPE_SE
	s_wait_dscnt 0x0
	s_barrier_signal -1
	s_barrier_wait -1
	global_inv scope:SCOPE_SE
	s_and_saveexec_b32 s0, vcc_lo
	s_cbranch_execz .LBB0_15
; %bb.14:
	s_clause 0x2
	global_load_b128 v[168:171], v[88:89], off offset:14352
	global_load_b128 v[184:187], v[84:85], off offset:14352
	;; [unrolled: 1-line block ×3, first 2 shown]
	v_dual_mov_b32 v61, v203 :: v_dual_lshlrev_b32 v60, 1, v94
	global_load_b128 v[164:167], v[84:85], off offset:14368
	v_dual_mov_b32 v63, v203 :: v_dual_lshlrev_b32 v62, 1, v93
	v_dual_mov_b32 v65, v203 :: v_dual_lshlrev_b32 v64, 1, v92
	v_lshlrev_b64_e32 v[60:61], 4, v[60:61]
	v_dual_mov_b32 v67, v203 :: v_dual_lshlrev_b32 v66, 1, v91
	s_delay_alu instid0(VALU_DEP_4) | instskip(NEXT) | instid1(VALU_DEP_4)
	v_lshlrev_b64_e32 v[62:63], 4, v[62:63]
	v_lshlrev_b64_e32 v[64:65], 4, v[64:65]
	v_add_nc_u32_e32 v234, 0x276, v204
	v_add_co_u32 v60, vcc_lo, s8, v60
	s_wait_alu 0xfffd
	v_add_co_ci_u32_e32 v61, vcc_lo, s9, v61, vcc_lo
	v_add_co_u32 v62, vcc_lo, s8, v62
	s_wait_alu 0xfffd
	v_add_co_ci_u32_e32 v63, vcc_lo, s9, v63, vcc_lo
	s_clause 0x1
	global_load_b128 v[160:163], v[60:61], off offset:14352
	global_load_b128 v[152:155], v[60:61], off offset:14368
	v_add_co_u32 v60, vcc_lo, s8, v64
	s_wait_alu 0xfffd
	v_add_co_ci_u32_e32 v61, vcc_lo, s9, v65, vcc_lo
	s_clause 0x1
	global_load_b128 v[156:159], v[62:63], off offset:14352
	global_load_b128 v[128:131], v[62:63], off offset:14368
	v_dual_mov_b32 v65, v203 :: v_dual_add_nc_u32 v64, 0x384, v202
	global_load_b128 v[124:127], v[60:61], off offset:14352
	v_lshlrev_b64_e32 v[62:63], 4, v[66:67]
	v_add_nc_u32_e32 v202, 0x2d0, v202
	v_add_nc_u32_e32 v236, 0x2d0, v204
	v_lshlrev_b64_e32 v[64:65], 4, v[64:65]
	s_delay_alu instid0(VALU_DEP_4)
	v_add_co_u32 v62, vcc_lo, s8, v62
	s_wait_alu 0xfffd
	v_add_co_ci_u32_e32 v63, vcc_lo, s9, v63, vcc_lo
	s_clause 0x1
	global_load_b128 v[120:123], v[62:63], off offset:14352
	global_load_b128 v[116:119], v[86:87], off offset:14352
	v_lshlrev_b64_e32 v[66:67], 4, v[202:203]
	v_lshlrev_b32_e32 v202, 1, v90
	global_load_b128 v[112:115], v[86:87], off offset:14368
	v_add_co_u32 v64, vcc_lo, s8, v64
	s_clause 0x1
	global_load_b128 v[96:99], v[60:61], off offset:14368
	global_load_b128 v[80:83], v[62:63], off offset:14368
	v_lshlrev_b64_e32 v[62:63], 4, v[202:203]
	s_wait_alu 0xfffd
	v_add_co_ci_u32_e32 v65, vcc_lo, s9, v65, vcc_lo
	v_add_co_u32 v60, vcc_lo, s8, v66
	s_wait_alu 0xfffd
	v_add_co_ci_u32_e32 v61, vcc_lo, s9, v67, vcc_lo
	v_add_co_u32 v62, vcc_lo, s8, v62
	s_wait_alu 0xfffd
	v_add_co_ci_u32_e32 v63, vcc_lo, s9, v63, vcc_lo
	s_clause 0x5
	global_load_b128 v[104:107], v[64:65], off offset:14352
	global_load_b128 v[100:103], v[64:65], off offset:14368
	;; [unrolled: 1-line block ×6, first 2 shown]
	ds_load_2addr_b64 v[12:15], v210 offset0:80 offset1:170
	scratch_store_b128 off, v[4:7], off offset:32 ; 16-byte Folded Spill
	ds_load_2addr_b64 v[192:195], v217 offset0:132 offset1:222
	v_mul_lo_u32 v4, s11, v174
	v_mul_lo_u32 v5, s10, v175
	v_mad_co_u64_u32 v[217:218], null, s10, v174, 0
	v_mul_hi_u32 v6, 0x91a2b3c5, v204
	v_add_nc_u32_e32 v7, 0x5a, v204
	v_add_nc_u32_e32 v60, 0x32a, v204
	v_mov_b32_e32 v210, v203
	v_add3_u32 v218, v218, v5, v4
	s_delay_alu instid0(VALU_DEP_3)
	v_mul_hi_u32 v235, 0x91a2b3c5, v60
	v_lshrrev_b32_e32 v6, 9, v6
	s_wait_dscnt 0x1
	scratch_store_b128 off, v[12:15], off offset:48 ; 16-byte Folded Spill
	ds_load_2addr_b64 v[188:191], v212 offset0:84 offset1:174
	ds_load_2addr_b64 v[176:179], v216 offset0:88 offset1:178
	;; [unrolled: 1-line block ×6, first 2 shown]
	v_mov_b32_e32 v208, v203
	v_mul_hi_u32 v214, 0x91a2b3c5, v7
	v_mov_b32_e32 v212, v203
	v_mul_u32_u24_e32 v6, 0x384, v6
	v_mov_b32_e32 v211, v203
	s_delay_alu instid0(VALU_DEP_2) | instskip(SKIP_1) | instid1(VALU_DEP_2)
	v_sub_nc_u32_e32 v6, v204, v6
	v_lshrrev_b32_e32 v214, 9, v214
	v_lshlrev_b32_e32 v6, 4, v6
	s_wait_dscnt 0x0
	scratch_store_b128 off, v[12:15], off offset:16 ; 16-byte Folded Spill
	v_add_nc_u32_e32 v13, 0x10e, v204
	v_add_nc_u32_e32 v14, 0x168, v204
	;; [unrolled: 1-line block ×3, first 2 shown]
	ds_load_2addr_b64 v[252:255], v207 offset0:108 offset1:198
	ds_load_2addr_b64 v[136:139], v209 offset0:112 offset1:202
	;; [unrolled: 1-line block ×5, first 2 shown]
	ds_load_2addr_b64 v[76:79], v198 offset1:90
	ds_load_2addr_b64 v[239:242], v205 offset0:8 offset1:98
	v_dual_mov_b32 v213, v203 :: v_dual_add_nc_u32 v12, 0xb4, v204
	v_mul_hi_u32 v216, 0x91a2b3c5, v13
	v_mul_hi_u32 v220, 0x91a2b3c5, v15
	v_add_nc_u32_e32 v207, 0x21c, v204
	v_mul_u32_u24_e32 v204, 0x384, v214
	v_lshlrev_b64_e32 v[205:206], 4, v[200:201]
	v_lshlrev_b64_e32 v[201:202], 4, v[217:218]
	v_mul_hi_u32 v215, 0x91a2b3c5, v12
	v_mul_hi_u32 v221, 0x91a2b3c5, v207
	v_lshrrev_b32_e32 v224, 9, v216
	v_lshrrev_b32_e32 v237, 9, v220
	v_sub_nc_u32_e32 v7, v7, v204
	v_add_co_u32 v201, vcc_lo, s6, v201
	s_delay_alu instid0(VALU_DEP_4)
	v_mul_u32_u24_e32 v216, 0x384, v224
	s_wait_alu 0xfffd
	v_add_co_ci_u32_e32 v204, vcc_lo, s7, v202, vcc_lo
	v_mad_u32_u24 v202, 0xa8c, v214, v7
	v_lshrrev_b32_e32 v217, 9, v215
	v_sub_nc_u32_e32 v7, v13, v216
	v_lshrrev_b32_e32 v238, 9, v221
	v_add_co_u32 v201, vcc_lo, v201, v205
	s_delay_alu instid0(VALU_DEP_4)
	v_mul_u32_u24_e32 v215, 0x384, v217
	s_wait_alu 0xfffd
	v_add_co_ci_u32_e32 v198, vcc_lo, v204, v206, vcc_lo
	v_mul_u32_u24_e32 v220, 0x384, v238
	v_mov_b32_e32 v209, v203
	v_sub_nc_u32_e32 v12, v12, v215
	v_lshlrev_b64_e32 v[214:215], 4, v[202:203]
	s_delay_alu instid0(VALU_DEP_1) | instskip(SKIP_1) | instid1(VALU_DEP_2)
	v_add_co_u32 v214, vcc_lo, v201, v214
	s_wait_alu 0xfffd
	v_add_co_ci_u32_e32 v215, vcc_lo, v198, v215, vcc_lo
	s_wait_loadcnt 0x12
	v_mul_f64_e32 v[226:227], v[56:57], v[186:187]
	v_mul_f64_e32 v[186:187], v[192:193], v[186:187]
	s_wait_loadcnt 0x11
	v_mul_f64_e32 v[232:233], v[54:55], v[182:183]
	s_delay_alu instid0(VALU_DEP_3)
	v_fma_f64 v[192:193], v[184:185], v[192:193], -v[226:227]
	v_mov_b32_e32 v227, v203
	v_mul_hi_u32 v219, 0x91a2b3c5, v14
	v_fma_f64 v[56:57], v[56:57], v[184:185], v[186:187]
	s_wait_loadcnt 0xf
	v_mul_f64_e32 v[186:187], v[50:51], v[162:163]
	v_mul_f64_e32 v[162:163], v[190:191], v[162:163]
	s_delay_alu instid0(VALU_DEP_4) | instskip(SKIP_1) | instid1(VALU_DEP_2)
	v_lshrrev_b32_e32 v230, 9, v219
	v_mul_u32_u24_e32 v219, 0x384, v237
	v_mul_u32_u24_e32 v218, 0x384, v230
	s_delay_alu instid0(VALU_DEP_1) | instskip(NEXT) | instid1(VALU_DEP_3)
	v_sub_nc_u32_e32 v13, v14, v218
	v_sub_nc_u32_e32 v14, v15, v219
	v_mul_f64_e32 v[218:219], v[58:59], v[170:171]
	v_mul_f64_e32 v[170:171], v[194:195], v[170:171]
	v_sub_nc_u32_e32 v15, v207, v220
	v_add_nc_u32_e32 v207, 0x384, v202
	v_add_nc_u32_e32 v202, 0x708, v202
	s_delay_alu instid0(VALU_DEP_2) | instskip(NEXT) | instid1(VALU_DEP_2)
	v_lshlrev_b64_e32 v[204:205], 4, v[207:208]
	v_lshlrev_b64_e32 v[206:207], 4, v[202:203]
	v_mad_u32_u24 v202, 0xa8c, v217, v12
	v_lshrrev_b32_e32 v12, 9, v235
	scratch_store_b32 off, v60, off offset:64 ; 4-byte Folded Spill
	s_wait_dscnt 0x0
	v_fma_f64 v[60:61], v[180:181], v[241:242], -v[232:233]
	v_add_co_u32 v204, vcc_lo, v201, v204
	v_lshlrev_b64_e32 v[216:217], 4, v[202:203]
	v_add_nc_u32_e32 v208, 0x384, v202
	v_add_nc_u32_e32 v202, 0x708, v202
	s_wait_alu 0xfffd
	v_add_co_ci_u32_e32 v205, vcc_lo, v198, v205, vcc_lo
	v_add_co_u32 v206, vcc_lo, v201, v206
	s_delay_alu instid0(VALU_DEP_3)
	v_lshlrev_b64_e32 v[222:223], 4, v[202:203]
	v_mad_u32_u24 v202, 0xa8c, v224, v7
	v_lshlrev_b64_e32 v[220:221], 4, v[208:209]
	s_wait_alu 0xfffd
	v_add_co_ci_u32_e32 v207, vcc_lo, v198, v207, vcc_lo
	v_add_co_u32 v216, vcc_lo, v201, v216
	v_add_nc_u32_e32 v209, 0x384, v202
	s_wait_alu 0xfffd
	v_add_co_ci_u32_e32 v217, vcc_lo, v198, v217, vcc_lo
	v_lshlrev_b64_e32 v[224:225], 4, v[202:203]
	v_add_co_u32 v220, vcc_lo, v201, v220
	v_add_nc_u32_e32 v202, 0x708, v202
	s_wait_alu 0xfffd
	v_add_co_ci_u32_e32 v221, vcc_lo, v198, v221, vcc_lo
	v_fma_f64 v[194:195], v[168:169], v[194:195], -v[218:219]
	v_fma_f64 v[58:59], v[58:59], v[168:169], v[170:171]
	v_mul_f64_e32 v[168:169], v[241:242], v[182:183]
	v_add_co_u32 v222, vcc_lo, v201, v222
	v_lshlrev_b64_e32 v[208:209], 4, v[209:210]
	s_wait_alu 0xfffd
	v_add_co_ci_u32_e32 v223, vcc_lo, v198, v223, vcc_lo
	v_lshlrev_b64_e32 v[228:229], 4, v[202:203]
	v_add_co_u32 v224, vcc_lo, v201, v224
	s_wait_alu 0xfffd
	v_add_co_ci_u32_e32 v225, vcc_lo, v198, v225, vcc_lo
	v_mad_u32_u24 v202, 0xa8c, v230, v13
	v_add_co_u32 v170, vcc_lo, v201, v208
	s_wait_alu 0xfffd
	v_add_co_ci_u32_e32 v171, vcc_lo, v198, v209, vcc_lo
	v_add_co_u32 v182, vcc_lo, v201, v228
	v_lshlrev_b64_e32 v[230:231], 4, v[202:203]
	s_wait_alu 0xfffd
	v_add_co_ci_u32_e32 v183, vcc_lo, v198, v229, vcc_lo
	v_mul_f64_e32 v[228:229], v[52:53], v[166:167]
	v_mul_f64_e32 v[166:167], v[239:240], v[166:167]
	v_add_nc_u32_e32 v210, 0x384, v202
	v_add_nc_u32_e32 v202, 0x708, v202
	v_add_co_u32 v218, vcc_lo, v201, v230
	s_wait_alu 0xfffd
	v_add_co_ci_u32_e32 v219, vcc_lo, v198, v231, vcc_lo
	v_lshlrev_b64_e32 v[230:231], 4, v[210:211]
	v_lshlrev_b64_e32 v[208:209], 4, v[202:203]
	v_mad_u32_u24 v202, 0xa8c, v237, v14
	v_fma_f64 v[186:187], v[160:161], v[190:191], -v[186:187]
	s_wait_loadcnt 0xe
	v_mul_f64_e32 v[232:233], v[46:47], v[154:155]
	v_mul_f64_e32 v[154:155], v[178:179], v[154:155]
	v_add_co_u32 v230, vcc_lo, v201, v230
	v_lshlrev_b64_e32 v[184:185], 4, v[202:203]
	s_wait_alu 0xfffd
	v_add_co_ci_u32_e32 v231, vcc_lo, v198, v231, vcc_lo
	v_add_co_u32 v208, vcc_lo, v201, v208
	s_wait_alu 0xfffd
	v_add_co_ci_u32_e32 v209, vcc_lo, v198, v209, vcc_lo
	v_fma_f64 v[142:143], v[54:55], v[180:181], v[168:169]
	v_add_co_u32 v180, vcc_lo, v201, v184
	s_wait_alu 0xfffd
	v_add_co_ci_u32_e32 v181, vcc_lo, v198, v185, vcc_lo
	v_mov_b32_e32 v185, v203
	v_mul_hi_u32 v4, 0x91a2b3c5, v234
	v_add_nc_u32_e32 v211, 0x384, v202
	v_add_nc_u32_e32 v202, 0x708, v202
	s_wait_loadcnt 0x9
	v_mul_f64_e32 v[190:191], v[20:21], v[118:119]
	v_mul_f64_e32 v[118:119], v[132:133], v[118:119]
	v_lshlrev_b64_e32 v[210:211], 4, v[211:212]
	v_lshlrev_b64_e32 v[168:169], 4, v[202:203]
	v_lshrrev_b32_e32 v4, 9, v4
	v_fma_f64 v[74:75], v[164:165], v[239:240], -v[228:229]
	v_fma_f64 v[64:65], v[52:53], v[164:165], v[166:167]
	v_fma_f64 v[52:53], v[50:51], v[160:161], v[162:163]
	v_add_co_u32 v166, vcc_lo, v201, v210
	v_mul_u32_u24_e32 v7, 0x384, v4
	s_wait_alu 0xfffd
	v_add_co_ci_u32_e32 v167, vcc_lo, v198, v211, vcc_lo
	v_mul_f64_e32 v[210:211], v[42:43], v[126:127]
	v_mul_f64_e32 v[126:127], v[174:175], v[126:127]
	v_sub_nc_u32_e32 v7, v234, v7
	v_mul_f64_e32 v[234:235], v[48:49], v[158:159]
	v_mul_f64_e32 v[158:159], v[188:189], v[158:159]
	;; [unrolled: 1-line block ×6, first 2 shown]
	v_add_co_u32 v160, vcc_lo, v201, v168
	s_wait_alu 0xfffd
	v_add_co_ci_u32_e32 v161, vcc_lo, v198, v169, vcc_lo
	v_mad_u32_u24 v202, 0xa8c, v238, v15
	v_fma_f64 v[178:179], v[152:153], v[178:179], -v[232:233]
	v_fma_f64 v[152:153], v[46:47], v[152:153], v[154:155]
	s_wait_loadcnt 0x7
	v_mul_f64_e32 v[154:155], v[245:246], v[98:99]
	v_mul_f64_e32 v[98:99], v[38:39], v[98:99]
	v_lshlrev_b64_e32 v[228:229], 4, v[202:203]
	v_add_nc_u32_e32 v212, 0x384, v202
	v_add_nc_u32_e32 v202, 0x708, v202
	s_delay_alu instid0(VALU_DEP_2)
	v_lshlrev_b64_e32 v[212:213], 4, v[212:213]
	v_fma_f64 v[132:133], v[116:117], v[132:133], -v[190:191]
	v_fma_f64 v[20:21], v[20:21], v[116:117], v[118:119]
	v_add_f64_e64 v[118:119], v[194:195], -v[60:61]
	v_fma_f64 v[174:175], v[124:125], v[174:175], -v[210:211]
	v_fma_f64 v[42:43], v[42:43], v[124:125], v[126:127]
	s_wait_loadcnt 0x3
	v_mul_f64_e32 v[124:125], v[28:29], v[86:87]
	v_fma_f64 v[168:169], v[156:157], v[188:189], -v[234:235]
	v_fma_f64 v[48:49], v[48:49], v[156:157], v[158:159]
	v_mul_f64_e32 v[156:157], v[24:25], v[114:115]
	v_mul_f64_e32 v[114:115], v[148:149], v[114:115]
	;; [unrolled: 1-line block ×3, first 2 shown]
	v_fma_f64 v[40:41], v[40:41], v[120:121], v[122:123]
	s_wait_loadcnt 0x0
	v_mul_f64_e32 v[122:123], v[26:27], v[90:91]
	v_mul_f64_e32 v[90:91], v[150:151], v[90:91]
	v_fma_f64 v[164:165], v[128:129], v[176:177], -v[164:165]
	v_mul_f64_e32 v[176:177], v[243:244], v[82:83]
	v_fma_f64 v[128:129], v[44:45], v[128:129], v[130:131]
	v_mul_f64_e32 v[44:45], v[36:37], v[82:83]
	v_mul_f64_e32 v[82:83], v[30:31], v[106:107]
	v_fma_f64 v[126:127], v[120:121], v[172:173], -v[162:163]
	v_mul_f64_e32 v[120:121], v[22:23], v[94:95]
	v_lshlrev_b64_e32 v[188:189], 4, v[202:203]
	v_mad_u32_u24 v202, 0xa8c, v4, v7
	v_mul_f64_e32 v[106:107], v[254:255], v[106:107]
	v_add_co_u32 v158, vcc_lo, v201, v228
	s_wait_alu 0xfffd
	v_add_co_ci_u32_e32 v159, vcc_lo, v198, v229, vcc_lo
	v_lshlrev_b64_e32 v[46:47], 4, v[202:203]
	v_add_nc_u32_e32 v226, 0x384, v202
	v_add_nc_u32_e32 v202, 0x708, v202
	v_add_co_u32 v228, vcc_lo, v201, v6
	s_wait_alu 0xfffd
	v_add_co_ci_u32_e32 v229, vcc_lo, 0, v198, vcc_lo
	s_delay_alu instid0(VALU_DEP_3)
	v_lshlrev_b64_e32 v[146:147], 4, v[202:203]
	v_mul_f64_e32 v[94:95], v[134:135], v[94:95]
	v_mul_f64_e32 v[162:163], v[32:33], v[110:111]
	;; [unrolled: 1-line block ×5, first 2 shown]
	v_add_f64_e64 v[140:141], v[186:187], -v[178:179]
	v_fma_f64 v[116:117], v[112:113], v[148:149], -v[156:157]
	v_fma_f64 v[72:73], v[24:25], v[112:113], v[114:115]
	v_fma_f64 v[28:29], v[28:29], v[84:85], v[86:87]
	v_add_co_u32 v148, vcc_lo, v201, v212
	v_fma_f64 v[86:87], v[88:89], v[150:151], -v[122:123]
	v_fma_f64 v[88:89], v[26:27], v[88:89], v[90:91]
	v_mov_b32_e32 v27, v3
	v_mul_hi_u32 v5, 0x91a2b3c5, v236
	v_fma_f64 v[50:51], v[243:244], v[80:81], v[44:45]
	v_fma_f64 v[44:45], v[104:105], v[254:255], -v[82:83]
	v_fma_f64 v[82:83], v[84:85], v[252:253], -v[124:125]
	;; [unrolled: 1-line block ×3, first 2 shown]
	v_add_f64_e32 v[120:121], v[56:57], v[64:65]
	v_add_f64_e64 v[122:123], v[56:57], -v[64:65]
	v_mov_b32_e32 v26, v2
	v_lshrrev_b32_e32 v5, 9, v5
	v_dual_mov_b32 v25, v1 :: v_dual_mov_b32 v24, v0
	scratch_load_b128 v[252:255], off, off offset:32 th:TH_LOAD_LU ; 16-byte Folded Reload
	s_wait_alu 0xfffd
	v_add_co_ci_u32_e32 v149, vcc_lo, v198, v213, vcc_lo
	v_mul_u32_u24_e32 v14, 0x384, v5
	v_add_co_u32 v156, vcc_lo, v201, v188
	s_wait_alu 0xfffd
	v_add_co_ci_u32_e32 v157, vcc_lo, v198, v189, vcc_lo
	s_delay_alu instid0(VALU_DEP_3) | instskip(SKIP_3) | instid1(VALU_DEP_3)
	v_sub_nc_u32_e32 v14, v236, v14
	v_add_co_u32 v172, vcc_lo, v201, v46
	s_wait_alu 0xfffd
	v_add_co_ci_u32_e32 v173, vcc_lo, v198, v47, vcc_lo
	v_mad_u32_u24 v202, 0xa8c, v5, v14
	v_fma_f64 v[46:47], v[96:97], v[38:39], -v[154:155]
	v_fma_f64 v[38:39], v[245:246], v[96:97], v[98:99]
	v_fma_f64 v[92:93], v[22:23], v[92:93], v[94:95]
	v_fma_f64 v[98:99], v[108:109], v[136:137], -v[162:163]
	v_lshlrev_b64_e32 v[4:5], 4, v[202:203]
	scratch_store_b32 off, v12, off offset:68 ; 4-byte Folded Spill
	v_mul_u32_u24_e32 v12, 0x384, v12
	v_fma_f64 v[32:33], v[32:33], v[108:109], v[110:111]
	v_fma_f64 v[36:37], v[80:81], v[36:37], -v[176:177]
	v_fma_f64 v[80:81], v[100:101], v[138:139], -v[130:131]
	v_fma_f64 v[30:31], v[30:31], v[104:105], v[106:107]
	scratch_store_b32 off, v12, off offset:72 ; 4-byte Folded Spill
	v_add_f64_e32 v[12:13], v[8:9], v[56:57]
	scratch_load_b128 v[54:57], off, off offset:48 th:TH_LOAD_LU ; 16-byte Folded Reload
	v_fma_f64 v[34:35], v[34:35], v[100:101], v[102:103]
	v_lshlrev_b64_e32 v[112:113], 4, v[226:227]
	v_add_f64_e32 v[90:91], v[132:133], v[116:117]
	v_add_f64_e32 v[102:103], v[10:11], v[58:59]
	;; [unrolled: 1-line block ×5, first 2 shown]
	v_add_co_u32 v190, vcc_lo, v201, v112
	s_wait_alu 0xfffd
	v_add_co_ci_u32_e32 v191, vcc_lo, v198, v113, vcc_lo
	v_add_f64_e64 v[112:113], v[58:59], -v[142:143]
	v_add_f64_e32 v[58:59], v[58:59], v[142:143]
	v_add_f64_e32 v[100:101], v[78:79], v[194:195]
	;; [unrolled: 1-line block ×5, first 2 shown]
	v_add_f64_e64 v[106:107], v[132:133], -v[116:117]
	v_add_f64_e32 v[132:133], v[186:187], v[178:179]
	v_add_f64_e32 v[138:139], v[52:53], v[152:153]
	;; [unrolled: 1-line block ×4, first 2 shown]
	v_add_f64_e64 v[130:131], v[192:193], -v[74:75]
	v_add_f64_e32 v[210:211], v[40:41], v[50:51]
	v_add_f64_e32 v[154:155], v[174:175], v[46:47]
	;; [unrolled: 1-line block ×5, first 2 shown]
	v_add_f64_e64 v[94:95], v[20:21], -v[72:73]
	v_add_f64_e64 v[134:135], v[52:53], -v[152:153]
	;; [unrolled: 1-line block ×3, first 2 shown]
	v_add_f64_e32 v[234:235], v[28:29], v[32:33]
	v_add_f64_e32 v[192:193], v[126:127], v[36:37]
	;; [unrolled: 1-line block ×5, first 2 shown]
	v_add_f64_e64 v[96:97], v[40:41], -v[50:51]
	v_add_f64_e64 v[14:15], v[44:45], -v[80:81]
	v_add_f64_e32 v[238:239], v[30:31], v[34:35]
	v_add_f64_e32 v[40:41], v[18:19], v[84:85]
	;; [unrolled: 1-line block ×3, first 2 shown]
	v_add_f64_e64 v[196:197], v[30:31], -v[34:35]
	v_add_f64_e32 v[162:163], v[68:69], v[174:175]
	v_fma_f64 v[76:77], v[110:111], -0.5, v[76:77]
	v_fma_f64 v[78:79], v[108:109], -0.5, v[78:79]
	v_add_f64_e64 v[174:175], v[174:175], -v[46:47]
	v_add_f64_e64 v[126:127], v[126:127], -v[36:37]
	v_add_nc_u32_e32 v184, 0x384, v202
	v_add_nc_u32_e32 v202, 0x708, v202
	scratch_load_b128 v[244:247], off, off th:TH_LOAD_LU ; 16-byte Folded Reload
	v_fma_f64 v[58:59], v[58:59], -0.5, v[10:11]
	v_add_f64_e32 v[22:23], v[22:23], v[116:117]
	v_add_f64_e32 v[20:21], v[6:7], v[72:73]
	v_add_f64_e64 v[72:73], v[28:29], -v[32:33]
	v_add_f64_e32 v[6:7], v[12:13], v[64:65]
	v_fma_f64 v[110:111], v[240:241], -0.5, v[26:27]
	v_add_f64_e32 v[12:13], v[162:163], v[46:47]
	v_fma_f64 v[46:47], v[112:113], s[2:3], v[78:79]
	s_wait_loadcnt 0x2
	v_add_f64_e32 v[199:200], v[254:255], v[52:53]
	v_add_f64_e32 v[136:137], v[252:253], v[48:49]
	v_fma_f64 v[48:49], v[104:105], -0.5, v[24:25]
	v_add_f64_e64 v[104:105], v[82:83], -v[98:99]
	s_wait_loadcnt 0x1
	v_add_f64_e32 v[0:1], v[56:57], v[186:187]
	scratch_store_b64 off, v[4:5], off offset:76 ; 8-byte Folded Spill
	v_add_f64_e32 v[186:187], v[250:251], v[42:43]
	v_add_f64_e64 v[4:5], v[42:43], -v[38:39]
	v_add_f64_e32 v[42:43], v[26:27], v[92:93]
	v_fma_f64 v[116:117], v[132:133], -0.5, v[56:57]
	v_add_f64_e32 v[188:189], v[54:55], v[168:169]
	v_add_f64_e64 v[168:169], v[168:169], -v[164:165]
	scratch_store_b64 off, v[0:1], off offset:84 ; 8-byte Folded Spill
	scratch_load_b128 v[0:3], off, off offset:16 th:TH_LOAD_LU ; 16-byte Folded Reload
	v_add_f64_e32 v[10:11], v[186:187], v[38:39]
	s_wait_loadcnt 0x1
	v_add_f64_e32 v[70:71], v[246:247], v[30:31]
	v_add_f64_e32 v[62:63], v[244:245], v[28:29]
	v_mov_b32_e32 v31, v19
	v_fma_f64 v[132:133], v[234:235], -0.5, v[244:245]
	v_mov_b32_e32 v30, v18
	v_add_f64_e32 v[18:19], v[100:101], v[60:61]
	v_fma_f64 v[60:61], v[154:155], -0.5, v[68:69]
	v_fma_f64 v[100:101], v[192:193], -0.5, v[66:67]
	;; [unrolled: 1-line block ×4, first 2 shown]
	v_add_f64_e32 v[24:25], v[70:71], v[34:35]
	v_add_f64_e32 v[28:29], v[62:63], v[32:33]
	;; [unrolled: 1-line block ×4, first 2 shown]
	v_fma_f64 v[40:41], v[106:107], s[2:3], v[48:49]
	v_fma_f64 v[62:63], v[4:5], s[2:3], v[60:61]
	;; [unrolled: 1-line block ×4, first 2 shown]
	v_add_co_u32 v4, vcc_lo, v201, v146
	s_wait_alu 0xfffd
	v_add_co_ci_u32_e32 v5, vcc_lo, v198, v147, vcc_lo
	s_wait_loadcnt 0x0
	v_add_f64_e32 v[242:243], v[2:3], v[44:45]
	v_add_f64_e32 v[52:53], v[0:1], v[82:83]
	v_fma_f64 v[44:45], v[90:91], -0.5, v[16:17]
	v_fma_f64 v[82:83], v[120:121], -0.5, v[8:9]
	v_add_f64_e64 v[90:91], v[92:93], -v[88:89]
	v_add_f64_e64 v[92:93], v[84:85], -v[86:87]
	v_fma_f64 v[84:85], v[176:177], -0.5, v[250:251]
	v_fma_f64 v[68:69], v[226:227], -0.5, v[0:1]
	v_add_f64_e32 v[16:17], v[102:103], v[142:143]
	v_fma_f64 v[102:103], v[212:213], -0.5, v[2:3]
	v_fma_f64 v[120:121], v[138:139], -0.5, v[254:255]
	v_fma_f64 v[138:139], v[150:151], -0.5, v[252:253]
	v_fma_f64 v[150:151], v[238:239], -0.5, v[246:247]
	v_add_f64_e32 v[8:9], v[124:125], v[74:75]
	v_add_f64_e32 v[2:3], v[194:195], v[36:37]
	v_fma_f64 v[36:37], v[106:107], s[4:5], v[48:49]
	v_fma_f64 v[48:49], v[118:119], s[2:3], v[58:59]
	v_fma_f64 v[124:125], v[114:115], -0.5, v[54:55]
	v_fma_f64 v[54:55], v[122:123], s[2:3], v[76:77]
	v_add_f64_e32 v[0:1], v[232:233], v[50:51]
	v_fma_f64 v[50:51], v[112:113], s[4:5], v[78:79]
	v_fma_f64 v[88:89], v[104:105], s[2:3], v[132:133]
	v_add_f64_e32 v[106:107], v[188:189], v[164:165]
	v_fma_f64 v[114:115], v[134:135], s[4:5], v[116:117]
	v_add_f64_e32 v[26:27], v[242:243], v[80:81]
	v_add_f64_e32 v[30:31], v[52:53], v[98:99]
	v_fma_f64 v[38:39], v[94:95], s[2:3], v[44:45]
	v_fma_f64 v[42:43], v[94:95], s[4:5], v[44:45]
	v_fma_f64 v[44:45], v[118:119], s[4:5], v[58:59]
	v_fma_f64 v[58:59], v[122:123], s[4:5], v[76:77]
	v_fma_f64 v[56:57], v[130:131], s[2:3], v[82:83]
	v_fma_f64 v[52:53], v[130:131], s[4:5], v[82:83]
	v_fma_f64 v[60:61], v[174:175], s[4:5], v[84:85]
	v_fma_f64 v[64:65], v[174:175], s[2:3], v[84:85]
	v_fma_f64 v[86:87], v[90:91], s[4:5], v[108:109]
	v_fma_f64 v[84:85], v[92:93], s[2:3], v[110:111]
	v_fma_f64 v[82:83], v[90:91], s[2:3], v[108:109]
	v_fma_f64 v[80:81], v[92:93], s[4:5], v[110:111]
	v_fma_f64 v[90:91], v[72:73], s[4:5], v[68:69]
	v_fma_f64 v[78:79], v[72:73], s[2:3], v[68:69]
	v_fma_f64 v[76:77], v[104:105], s[4:5], v[132:133]
	v_fma_f64 v[94:95], v[196:197], s[4:5], v[102:103]
	v_fma_f64 v[92:93], v[14:15], s[2:3], v[150:151]
	v_fma_f64 v[74:75], v[196:197], s[2:3], v[102:103]
	v_fma_f64 v[72:73], v[14:15], s[4:5], v[150:151]
	v_fma_f64 v[98:99], v[96:97], s[4:5], v[100:101]
	v_fma_f64 v[96:97], v[126:127], s[2:3], v[154:155]
	v_fma_f64 v[68:69], v[126:127], s[4:5], v[154:155]
	scratch_load_b64 v[100:101], off, off offset:84 th:TH_LOAD_LU ; 8-byte Folded Reload
	s_clause 0x17
	global_store_b128 v[228:229], v[6:9], off
	global_store_b128 v[228:229], v[56:59], off offset:14400
	global_store_b128 v[228:229], v[52:55], off offset:28800
	global_store_b128 v[214:215], v[16:19], off
	global_store_b128 v[204:205], v[48:51], off
	;; [unrolled: 1-line block ×21, first 2 shown]
	s_clause 0x1
	scratch_load_b32 v0, off, off offset:64 th:TH_LOAD_LU
	scratch_load_b32 v1, off, off offset:72 th:TH_LOAD_LU
	v_add_f64_e32 v[104:105], v[136:137], v[128:129]
	v_fma_f64 v[108:109], v[140:141], s[4:5], v[120:121]
	v_fma_f64 v[112:113], v[140:141], s[2:3], v[120:121]
	;; [unrolled: 1-line block ×7, first 2 shown]
	v_lshlrev_b64_e32 v[2:3], 4, v[202:203]
	v_lshlrev_b64_e32 v[14:15], 4, v[184:185]
	v_mov_b32_e32 v9, v203
	scratch_load_b32 v5, off, off offset:68 th:TH_LOAD_LU ; 4-byte Folded Reload
	s_wait_loadcnt 0x3
	v_add_f64_e32 v[102:103], v[100:101], v[178:179]
	v_add_f64_e32 v[100:101], v[199:200], v[152:153]
	s_wait_loadcnt 0x1
	v_sub_nc_u32_e32 v4, v0, v1
	scratch_load_b64 v[0:1], off, off offset:76 th:TH_LOAD_LU ; 8-byte Folded Reload
	s_wait_loadcnt 0x1
	v_mad_u32_u24 v202, 0xa8c, v5, v4
	s_delay_alu instid0(VALU_DEP_1) | instskip(SKIP_2) | instid1(VALU_DEP_3)
	v_add_nc_u32_e32 v8, 0x384, v202
	v_lshlrev_b64_e32 v[6:7], 4, v[202:203]
	v_add_nc_u32_e32 v202, 0x708, v202
	v_lshlrev_b64_e32 v[8:9], 4, v[8:9]
	s_delay_alu instid0(VALU_DEP_2)
	v_lshlrev_b64_e32 v[10:11], 4, v[202:203]
	s_wait_loadcnt 0x0
	v_add_co_u32 v0, vcc_lo, v201, v0
	s_wait_alu 0xfffd
	v_add_co_ci_u32_e32 v1, vcc_lo, v198, v1, vcc_lo
	v_add_co_u32 v4, vcc_lo, v201, v14
	s_wait_alu 0xfffd
	v_add_co_ci_u32_e32 v5, vcc_lo, v198, v15, vcc_lo
	;; [unrolled: 3-line block ×6, first 2 shown]
	s_clause 0x5
	global_store_b128 v[0:1], v[104:107], off
	global_store_b128 v[4:5], v[120:123], off
	;; [unrolled: 1-line block ×6, first 2 shown]
.LBB0_15:
	s_endpgm
	.section	.rodata,"a",@progbits
	.p2align	6, 0x0
	.amdhsa_kernel fft_rtc_back_len2700_factors_3_10_10_3_3_wgs_90_tpt_90_halfLds_dp_op_CI_CI_unitstride_sbrr_dirReg
		.amdhsa_group_segment_fixed_size 0
		.amdhsa_private_segment_fixed_size 96
		.amdhsa_kernarg_size 104
		.amdhsa_user_sgpr_count 2
		.amdhsa_user_sgpr_dispatch_ptr 0
		.amdhsa_user_sgpr_queue_ptr 0
		.amdhsa_user_sgpr_kernarg_segment_ptr 1
		.amdhsa_user_sgpr_dispatch_id 0
		.amdhsa_user_sgpr_private_segment_size 0
		.amdhsa_wavefront_size32 1
		.amdhsa_uses_dynamic_stack 0
		.amdhsa_enable_private_segment 1
		.amdhsa_system_sgpr_workgroup_id_x 1
		.amdhsa_system_sgpr_workgroup_id_y 0
		.amdhsa_system_sgpr_workgroup_id_z 0
		.amdhsa_system_sgpr_workgroup_info 0
		.amdhsa_system_vgpr_workitem_id 0
		.amdhsa_next_free_vgpr 256
		.amdhsa_next_free_sgpr 39
		.amdhsa_reserve_vcc 1
		.amdhsa_float_round_mode_32 0
		.amdhsa_float_round_mode_16_64 0
		.amdhsa_float_denorm_mode_32 3
		.amdhsa_float_denorm_mode_16_64 3
		.amdhsa_fp16_overflow 0
		.amdhsa_workgroup_processor_mode 1
		.amdhsa_memory_ordered 1
		.amdhsa_forward_progress 0
		.amdhsa_round_robin_scheduling 0
		.amdhsa_exception_fp_ieee_invalid_op 0
		.amdhsa_exception_fp_denorm_src 0
		.amdhsa_exception_fp_ieee_div_zero 0
		.amdhsa_exception_fp_ieee_overflow 0
		.amdhsa_exception_fp_ieee_underflow 0
		.amdhsa_exception_fp_ieee_inexact 0
		.amdhsa_exception_int_div_zero 0
	.end_amdhsa_kernel
	.text
.Lfunc_end0:
	.size	fft_rtc_back_len2700_factors_3_10_10_3_3_wgs_90_tpt_90_halfLds_dp_op_CI_CI_unitstride_sbrr_dirReg, .Lfunc_end0-fft_rtc_back_len2700_factors_3_10_10_3_3_wgs_90_tpt_90_halfLds_dp_op_CI_CI_unitstride_sbrr_dirReg
                                        ; -- End function
	.section	.AMDGPU.csdata,"",@progbits
; Kernel info:
; codeLenInByte = 20576
; NumSgprs: 41
; NumVgprs: 256
; ScratchSize: 96
; MemoryBound: 1
; FloatMode: 240
; IeeeMode: 1
; LDSByteSize: 0 bytes/workgroup (compile time only)
; SGPRBlocks: 5
; VGPRBlocks: 31
; NumSGPRsForWavesPerEU: 41
; NumVGPRsForWavesPerEU: 256
; Occupancy: 5
; WaveLimiterHint : 1
; COMPUTE_PGM_RSRC2:SCRATCH_EN: 1
; COMPUTE_PGM_RSRC2:USER_SGPR: 2
; COMPUTE_PGM_RSRC2:TRAP_HANDLER: 0
; COMPUTE_PGM_RSRC2:TGID_X_EN: 1
; COMPUTE_PGM_RSRC2:TGID_Y_EN: 0
; COMPUTE_PGM_RSRC2:TGID_Z_EN: 0
; COMPUTE_PGM_RSRC2:TIDIG_COMP_CNT: 0
	.text
	.p2alignl 7, 3214868480
	.fill 96, 4, 3214868480
	.type	__hip_cuid_e8c1813733c4dab6,@object ; @__hip_cuid_e8c1813733c4dab6
	.section	.bss,"aw",@nobits
	.globl	__hip_cuid_e8c1813733c4dab6
__hip_cuid_e8c1813733c4dab6:
	.byte	0                               ; 0x0
	.size	__hip_cuid_e8c1813733c4dab6, 1

	.ident	"AMD clang version 19.0.0git (https://github.com/RadeonOpenCompute/llvm-project roc-6.4.0 25133 c7fe45cf4b819c5991fe208aaa96edf142730f1d)"
	.section	".note.GNU-stack","",@progbits
	.addrsig
	.addrsig_sym __hip_cuid_e8c1813733c4dab6
	.amdgpu_metadata
---
amdhsa.kernels:
  - .args:
      - .actual_access:  read_only
        .address_space:  global
        .offset:         0
        .size:           8
        .value_kind:     global_buffer
      - .offset:         8
        .size:           8
        .value_kind:     by_value
      - .actual_access:  read_only
        .address_space:  global
        .offset:         16
        .size:           8
        .value_kind:     global_buffer
      - .actual_access:  read_only
        .address_space:  global
        .offset:         24
        .size:           8
        .value_kind:     global_buffer
      - .actual_access:  read_only
        .address_space:  global
        .offset:         32
        .size:           8
        .value_kind:     global_buffer
      - .offset:         40
        .size:           8
        .value_kind:     by_value
      - .actual_access:  read_only
        .address_space:  global
        .offset:         48
        .size:           8
        .value_kind:     global_buffer
      - .actual_access:  read_only
        .address_space:  global
        .offset:         56
        .size:           8
        .value_kind:     global_buffer
      - .offset:         64
        .size:           4
        .value_kind:     by_value
      - .actual_access:  read_only
        .address_space:  global
        .offset:         72
        .size:           8
        .value_kind:     global_buffer
      - .actual_access:  read_only
        .address_space:  global
        .offset:         80
        .size:           8
        .value_kind:     global_buffer
      - .actual_access:  read_only
        .address_space:  global
        .offset:         88
        .size:           8
        .value_kind:     global_buffer
      - .actual_access:  write_only
        .address_space:  global
        .offset:         96
        .size:           8
        .value_kind:     global_buffer
    .group_segment_fixed_size: 0
    .kernarg_segment_align: 8
    .kernarg_segment_size: 104
    .language:       OpenCL C
    .language_version:
      - 2
      - 0
    .max_flat_workgroup_size: 90
    .name:           fft_rtc_back_len2700_factors_3_10_10_3_3_wgs_90_tpt_90_halfLds_dp_op_CI_CI_unitstride_sbrr_dirReg
    .private_segment_fixed_size: 96
    .sgpr_count:     41
    .sgpr_spill_count: 0
    .symbol:         fft_rtc_back_len2700_factors_3_10_10_3_3_wgs_90_tpt_90_halfLds_dp_op_CI_CI_unitstride_sbrr_dirReg.kd
    .uniform_work_group_size: 1
    .uses_dynamic_stack: false
    .vgpr_count:     256
    .vgpr_spill_count: 23
    .wavefront_size: 32
    .workgroup_processor_mode: 1
amdhsa.target:   amdgcn-amd-amdhsa--gfx1201
amdhsa.version:
  - 1
  - 2
...

	.end_amdgpu_metadata
